;; amdgpu-corpus repo=ROCm/rocFFT kind=compiled arch=gfx950 opt=O3
	.text
	.amdgcn_target "amdgcn-amd-amdhsa--gfx950"
	.amdhsa_code_object_version 6
	.protected	bluestein_single_back_len630_dim1_sp_op_CI_CI ; -- Begin function bluestein_single_back_len630_dim1_sp_op_CI_CI
	.globl	bluestein_single_back_len630_dim1_sp_op_CI_CI
	.p2align	8
	.type	bluestein_single_back_len630_dim1_sp_op_CI_CI,@function
bluestein_single_back_len630_dim1_sp_op_CI_CI: ; @bluestein_single_back_len630_dim1_sp_op_CI_CI
; %bb.0:
	s_load_dwordx4 s[8:11], s[0:1], 0x28
	v_mul_u32_u24_e32 v1, 0x411, v0
	v_mov_b32_e32 v89, 0
	v_add_u32_sdwa v98, s2, v1 dst_sel:DWORD dst_unused:UNUSED_PAD src0_sel:DWORD src1_sel:WORD_1
	v_mov_b32_e32 v99, v89
	s_waitcnt lgkmcnt(0)
	v_cmp_gt_u64_e32 vcc, s[8:9], v[98:99]
	s_and_saveexec_b64 s[2:3], vcc
	s_cbranch_execz .LBB0_31
; %bb.1:
	s_load_dwordx4 s[4:7], s[0:1], 0x18
	s_load_dwordx2 s[16:17], s[0:1], 0x0
	v_mov_b32_e32 v2, s10
	v_mov_b32_e32 v3, s11
	;; [unrolled: 1-line block ×3, first 2 shown]
	s_waitcnt lgkmcnt(0)
	s_load_dwordx4 s[8:11], s[4:5], 0x0
	v_mul_lo_u16_sdwa v1, v1, v4 dst_sel:DWORD dst_unused:UNUSED_PAD src0_sel:WORD_1 src1_sel:DWORD
	v_sub_u16_e32 v88, v0, v1
	v_lshlrev_b32_e32 v82, 3, v88
	global_load_dwordx2 v[106:107], v82, s[16:17]
	s_waitcnt lgkmcnt(0)
	v_mad_u64_u32 v[0:1], s[2:3], s10, v98, 0
	v_mov_b32_e32 v4, v1
	v_mad_u64_u32 v[4:5], s[2:3], s11, v98, v[4:5]
	v_mov_b32_e32 v1, v4
	v_mad_u64_u32 v[4:5], s[2:3], s8, v88, 0
	v_mov_b32_e32 v6, v5
	v_mad_u64_u32 v[6:7], s[2:3], s9, v88, v[6:7]
	s_mul_i32 s2, s9, 0xd2
	s_mul_hi_u32 s3, s8, 0xd2
	s_add_i32 s3, s3, s2
	s_mul_i32 s2, s8, 0xd2
	v_mov_b32_e32 v5, v6
	v_lshl_add_u64 v[0:1], v[0:1], 3, v[2:3]
	s_lshl_b64 s[4:5], s[2:3], 3
	s_mul_hi_u32 s3, s8, 0xfffffe9b
	v_lshl_add_u64 v[0:1], v[4:5], 3, v[0:1]
	s_mul_i32 s2, s9, 0xfffffe9b
	s_sub_i32 s3, s3, s8
	v_lshl_add_u64 v[2:3], v[0:1], 0, s[4:5]
	global_load_dwordx2 v[104:105], v82, s[16:17] offset:1680
	global_load_dwordx2 v[4:5], v[0:1], off
	s_add_i32 s19, s3, s2
	s_mul_i32 s18, s8, 0xfffffe9b
	v_lshl_add_u64 v[0:1], v[2:3], 0, s[4:5]
	global_load_dwordx2 v[2:3], v[2:3], off
	s_lshl_b64 s[2:3], s[18:19], 3
	global_load_dwordx2 v[6:7], v[0:1], off
	v_lshl_add_u64 v[0:1], v[0:1], 0, s[2:3]
	global_load_dwordx2 v[100:101], v82, s[16:17] offset:3360
	global_load_dwordx2 v[8:9], v[0:1], off
	global_load_dwordx2 v[102:103], v82, s[16:17] offset:504
	v_lshl_add_u64 v[0:1], v[0:1], 0, s[4:5]
	global_load_dwordx2 v[10:11], v[0:1], off
	global_load_dwordx2 v[96:97], v82, s[16:17] offset:2184
	v_lshl_add_u64 v[0:1], v[0:1], 0, s[4:5]
	v_mov_b32_e32 v83, v89
	global_load_dwordx2 v[12:13], v[0:1], off
	global_load_dwordx2 v[94:95], v82, s[16:17] offset:3864
	v_lshl_add_u64 v[0:1], v[0:1], 0, s[2:3]
	v_lshl_add_u64 v[84:85], s[16:17], 0, v[82:83]
	global_load_dwordx2 v[14:15], v[0:1], off
	global_load_dwordx2 v[92:93], v82, s[16:17] offset:1008
	v_lshl_add_u64 v[0:1], v[0:1], 0, s[4:5]
	s_movk_i32 s2, 0x1000
	global_load_dwordx2 v[16:17], v[0:1], off
	global_load_dwordx2 v[90:91], v82, s[16:17] offset:2688
	v_add_co_u32_e32 v18, vcc, s2, v84
	v_lshl_add_u64 v[0:1], v[0:1], 0, s[4:5]
	s_nop 0
	v_addc_co_u32_e32 v19, vcc, 0, v85, vcc
	global_load_dwordx2 v[86:87], v[18:19], off offset:272
	global_load_dwordx2 v[20:21], v[0:1], off
	s_load_dwordx2 s[10:11], s[0:1], 0x38
	s_load_dwordx4 s[12:15], s[6:7], 0x0
	v_cmp_lt_u16_e64 s[2:3], 20, v88
	v_cmp_gt_u16_e64 s[8:9], 21, v88
	s_waitcnt vmcnt(15)
	v_mul_f32_e32 v18, v5, v107
	v_mul_f32_e32 v19, v4, v107
	v_fmac_f32_e32 v18, v4, v106
	v_fma_f32 v19, v5, v106, -v19
	s_waitcnt vmcnt(14)
	v_mul_f32_e32 v4, v3, v105
	v_mul_f32_e32 v5, v2, v105
	v_fmac_f32_e32 v4, v2, v104
	v_fma_f32 v5, v3, v104, -v5
	s_waitcnt vmcnt(12)
	v_mul_f32_e32 v2, v7, v101
	v_mul_f32_e32 v3, v6, v101
	ds_write_b64 v82, v[4:5] offset:1680
	s_waitcnt vmcnt(10)
	v_mul_f32_e32 v4, v9, v103
	v_mul_f32_e32 v5, v8, v103
	v_fmac_f32_e32 v2, v6, v100
	v_fma_f32 v3, v7, v100, -v3
	v_fmac_f32_e32 v4, v8, v102
	v_fma_f32 v5, v9, v102, -v5
	ds_write_b64 v82, v[2:3] offset:3360
	ds_write2_b64 v82, v[18:19], v[4:5] offset1:63
	s_waitcnt vmcnt(6)
	v_mul_f32_e32 v4, v12, v95
	v_fma_f32 v7, v13, v94, -v4
	s_waitcnt vmcnt(4)
	v_mul_f32_e32 v4, v15, v93
	v_mul_f32_e32 v5, v14, v93
	;; [unrolled: 1-line block ×4, first 2 shown]
	v_fmac_f32_e32 v4, v14, v92
	v_fma_f32 v5, v15, v92, -v5
	s_waitcnt vmcnt(2)
	v_mul_f32_e32 v8, v17, v91
	v_mul_f32_e32 v9, v16, v91
	v_fmac_f32_e32 v2, v10, v96
	v_fma_f32 v3, v11, v96, -v3
	ds_write_b64 v82, v[4:5] offset:1008
	v_fmac_f32_e32 v8, v16, v90
	v_fma_f32 v9, v17, v90, -v9
	v_add_u32_e32 v4, 0x800, v82
	v_mul_f32_e32 v6, v13, v95
	ds_write2_b64 v4, v[2:3], v[8:9] offset0:17 offset1:80
	s_waitcnt vmcnt(0)
	v_mul_f32_e32 v2, v21, v87
	v_mul_f32_e32 v3, v20, v87
	v_fmac_f32_e32 v6, v12, v94
	v_fmac_f32_e32 v2, v20, v86
	v_fma_f32 v3, v21, v86, -v3
	v_add_u32_e32 v5, 0xc00, v82
	ds_write2_b64 v5, v[6:7], v[2:3] offset0:99 offset1:162
	s_and_saveexec_b64 s[6:7], s[8:9]
	s_cbranch_execz .LBB0_3
; %bb.2:
	v_lshl_add_u64 v[0:1], s[18:19], 3, v[0:1]
	global_load_dwordx2 v[2:3], v[0:1], off
	v_lshl_add_u64 v[0:1], v[0:1], 0, s[4:5]
	v_add_co_u32_e32 v12, vcc, 0x1000, v84
	global_load_dwordx2 v[6:7], v[0:1], off
	global_load_dwordx2 v[8:9], v[84:85], off offset:1512
	global_load_dwordx2 v[10:11], v[84:85], off offset:3192
	v_addc_co_u32_e32 v13, vcc, 0, v85, vcc
	v_lshl_add_u64 v[0:1], v[0:1], 0, s[4:5]
	global_load_dwordx2 v[14:15], v[12:13], off offset:776
	global_load_dwordx2 v[16:17], v[0:1], off
	v_add_u32_e32 v5, 0x500, v82
	s_waitcnt vmcnt(3)
	v_mul_f32_e32 v0, v3, v9
	v_mul_f32_e32 v1, v2, v9
	v_fmac_f32_e32 v0, v2, v8
	v_fma_f32 v1, v3, v8, -v1
	s_waitcnt vmcnt(2)
	v_mul_f32_e32 v2, v7, v11
	v_mul_f32_e32 v3, v6, v11
	v_fmac_f32_e32 v2, v6, v10
	v_fma_f32 v3, v7, v10, -v3
	;; [unrolled: 5-line block ×3, first 2 shown]
	ds_write2_b64 v5, v[0:1], v[2:3] offset0:29 offset1:239
	ds_write_b64 v82, v[6:7] offset:4872
.LBB0_3:
	s_or_b64 exec, exec, s[6:7]
	s_waitcnt lgkmcnt(0)
	; wave barrier
	s_waitcnt lgkmcnt(0)
	ds_read2_b64 v[8:11], v82 offset1:63
	ds_read2_b64 v[0:3], v82 offset0:126 offset1:210
	ds_read2_b64 v[14:17], v4 offset0:164 offset1:227
	;; [unrolled: 1-line block ×3, first 2 shown]
	ds_read_b64 v[22:23], v82 offset:4368
                                        ; implicit-def: $vgpr24
                                        ; implicit-def: $vgpr20
	s_and_saveexec_b64 s[4:5], s[8:9]
	s_cbranch_execz .LBB0_5
; %bb.4:
	v_add_u32_e32 v12, 0x500, v82
	ds_read2_b64 v[18:21], v12 offset0:29 offset1:239
	ds_read_b64 v[24:25], v82 offset:4872
.LBB0_5:
	s_or_b64 exec, exec, s[4:5]
	s_mov_b64 s[4:5], 0x7e
	v_lshl_add_u64 v[28:29], v[88:89], 0, s[4:5]
	s_mov_b64 s[4:5], 0xbd
	v_lshl_add_u64 v[30:31], v[88:89], 0, s[4:5]
	s_waitcnt lgkmcnt(1)
	v_pk_add_f32 v[12:13], v[20:21], v[18:19]
	s_waitcnt lgkmcnt(0)
	v_pk_add_f32 v[36:37], v[20:21], v[24:25]
	v_pk_add_f32 v[20:21], v[20:21], v[24:25] neg_lo:[0,1] neg_hi:[0,1]
	s_mov_b32 s4, 0x3f5db3d7
	v_pk_fma_f32 v[18:19], v[36:37], 0.5, v[18:19] op_sel_hi:[1,0,1] neg_lo:[1,0,0] neg_hi:[1,0,0]
	v_pk_mul_f32 v[20:21], v[20:21], s[4:5] op_sel_hi:[1,0]
	v_pk_add_f32 v[26:27], v[8:9], v[2:3]
	v_pk_add_f32 v[36:37], v[18:19], v[20:21] op_sel:[0,1] op_sel_hi:[1,0] neg_lo:[0,1] neg_hi:[0,1]
	v_pk_add_f32 v[38:39], v[18:19], v[20:21] op_sel:[0,1] op_sel_hi:[1,0]
	v_pk_add_f32 v[20:21], v[2:3], v[14:15]
	v_pk_add_f32 v[2:3], v[2:3], v[14:15] neg_lo:[0,1] neg_hi:[0,1]
	v_mul_lo_u16_e32 v18, 3, v88
	v_pk_fma_f32 v[8:9], v[20:21], 0.5, v[8:9] op_sel_hi:[1,0,1] neg_lo:[1,0,0] neg_hi:[1,0,0]
	v_pk_mul_f32 v[2:3], v[2:3], s[4:5] op_sel_hi:[1,0]
	v_lshl_add_u64 v[80:81], v[88:89], 0, 63
	v_lshlrev_b32_e32 v89, 3, v18
	v_pk_add_f32 v[18:19], v[26:27], v[14:15]
	v_pk_add_f32 v[14:15], v[8:9], v[2:3] op_sel:[0,1] op_sel_hi:[1,0]
	v_pk_add_f32 v[2:3], v[8:9], v[2:3] op_sel:[0,1] op_sel_hi:[1,0] neg_lo:[0,1] neg_hi:[0,1]
	v_mov_b32_e32 v8, v14
	v_mov_b32_e32 v9, v3
	v_pk_add_f32 v[32:33], v[10:11], v[4:5]
	s_waitcnt lgkmcnt(0)
	; wave barrier
	ds_write2_b64 v89, v[18:19], v[8:9] offset1:1
	v_pk_add_f32 v[8:9], v[4:5], v[16:17]
	v_pk_add_f32 v[4:5], v[4:5], v[16:17] neg_lo:[0,1] neg_hi:[0,1]
	v_mov_b32_e32 v3, v15
	v_pk_fma_f32 v[8:9], v[8:9], 0.5, v[10:11] op_sel_hi:[1,0,1] neg_lo:[1,0,0] neg_hi:[1,0,0]
	v_pk_mul_f32 v[4:5], v[4:5], s[4:5] op_sel_hi:[1,0]
	ds_write_b64 v89, v[2:3] offset:16
	v_mul_u32_u24_e32 v2, 3, v80
	v_pk_add_f32 v[10:11], v[8:9], v[4:5] op_sel:[0,1] op_sel_hi:[1,0]
	v_pk_add_f32 v[4:5], v[8:9], v[4:5] op_sel:[0,1] op_sel_hi:[1,0] neg_lo:[0,1] neg_hi:[0,1]
	v_lshlrev_b32_e32 v99, 3, v2
	v_mov_b32_e32 v9, v5
	v_mov_b32_e32 v5, v11
	ds_write_b64 v99, v[4:5] offset:16
	v_pk_add_f32 v[4:5], v[6:7], v[22:23]
	v_pk_add_f32 v[34:35], v[0:1], v[6:7]
	v_pk_fma_f32 v[0:1], v[4:5], 0.5, v[0:1] op_sel_hi:[1,0,1] neg_lo:[1,0,0] neg_hi:[1,0,0]
	v_pk_add_f32 v[4:5], v[6:7], v[22:23] neg_lo:[0,1] neg_hi:[0,1]
	v_pk_add_f32 v[2:3], v[32:33], v[16:17]
	v_mov_b32_e32 v8, v10
	v_pk_mul_f32 v[4:5], v[4:5], s[4:5] op_sel_hi:[1,0]
	ds_write2_b64 v99, v[2:3], v[8:9] offset1:1
	v_mul_u32_u24_e32 v2, 3, v28
	v_pk_add_f32 v[6:7], v[0:1], v[4:5] op_sel:[0,1] op_sel_hi:[1,0]
	v_pk_add_f32 v[0:1], v[0:1], v[4:5] op_sel:[0,1] op_sel_hi:[1,0] neg_lo:[0,1] neg_hi:[0,1]
	v_pk_add_f32 v[12:13], v[24:25], v[12:13]
	v_lshlrev_b32_e32 v126, 3, v2
	v_pk_add_f32 v[2:3], v[34:35], v[22:23]
	v_mov_b32_e32 v4, v6
	v_mov_b32_e32 v5, v1
	;; [unrolled: 1-line block ×3, first 2 shown]
	v_mul_u32_u24_e32 v127, 3, v30
	ds_write2_b64 v126, v[2:3], v[4:5] offset1:1
	ds_write_b64 v126, v[0:1] offset:16
	s_and_saveexec_b64 s[4:5], s[8:9]
	s_cbranch_execz .LBB0_7
; %bb.6:
	v_lshlrev_b32_e32 v2, 3, v127
	v_mov_b32_e32 v0, v38
	v_mov_b32_e32 v1, v37
	ds_write2_b64 v2, v[12:13], v[0:1] offset1:1
	v_mov_b32_e32 v0, v36
	v_mov_b32_e32 v1, v39
	ds_write_b64 v2, v[0:1] offset:16
.LBB0_7:
	s_or_b64 exec, exec, s[4:5]
	v_add_u32_e32 v0, 0x800, v82
	s_waitcnt lgkmcnt(0)
	; wave barrier
	s_waitcnt lgkmcnt(0)
	ds_read2_b64 v[24:27], v82 offset1:63
	ds_read2_b64 v[16:19], v82 offset0:126 offset1:210
	ds_read2_b64 v[32:35], v0 offset0:164 offset1:227
	;; [unrolled: 1-line block ×3, first 2 shown]
	ds_read_b64 v[40:41], v82 offset:4368
	s_load_dwordx2 s[0:1], s[0:1], 0x8
	s_and_saveexec_b64 s[4:5], s[2:3]
	s_xor_b64 s[4:5], exec, s[4:5]
	s_andn2_saveexec_b64 s[4:5], s[4:5]
	s_cbranch_execz .LBB0_9
; %bb.8:
	v_add_u32_e32 v0, 0x500, v82
	ds_read_b64 v[36:37], v82 offset:4872
	ds_read2_b64 v[12:15], v0 offset0:29 offset1:239
	s_waitcnt lgkmcnt(0)
	v_mov_b32_e32 v39, v37
	v_mov_b32_e32 v38, v14
	;; [unrolled: 1-line block ×3, first 2 shown]
.LBB0_9:
	s_or_b64 exec, exec, s[4:5]
	s_movk_i32 s4, 0xab
	v_mul_lo_u16_sdwa v0, v88, s4 dst_sel:DWORD dst_unused:UNUSED_PAD src0_sel:BYTE_0 src1_sel:DWORD
	v_lshrrev_b16_e32 v14, 9, v0
	v_mul_lo_u16_e32 v0, 3, v14
	v_sub_u16_e32 v0, v88, v0
	v_and_b32_e32 v15, 0xff, v0
	v_mul_lo_u16_sdwa v0, v80, s4 dst_sel:DWORD dst_unused:UNUSED_PAD src0_sel:BYTE_0 src1_sel:DWORD
	v_lshrrev_b16_e32 v42, 9, v0
	v_mul_lo_u16_e32 v0, 3, v42
	v_sub_u16_e32 v0, v80, v0
	v_lshlrev_b32_e32 v8, 4, v15
	v_and_b32_e32 v43, 0xff, v0
	v_lshlrev_b32_e32 v9, 4, v43
	s_waitcnt lgkmcnt(0)
	global_load_dwordx4 v[4:7], v8, s[0:1]
	global_load_dwordx4 v[0:3], v9, s[0:1]
	v_mul_lo_u16_sdwa v8, v30, s4 dst_sel:DWORD dst_unused:UNUSED_PAD src0_sel:BYTE_0 src1_sel:DWORD
	v_lshrrev_b16_e32 v58, 9, v8
	v_mul_lo_u16_e32 v8, 3, v58
	v_sub_u16_e32 v8, v30, v8
	v_and_b32_e32 v83, 0xff, v8
	v_lshlrev_b32_e32 v8, 4, v83
	global_load_dwordx4 v[8:11], v8, s[0:1]
	v_mul_lo_u16_sdwa v29, v28, s4 dst_sel:DWORD dst_unused:UNUSED_PAD src0_sel:BYTE_0 src1_sel:DWORD
	v_lshrrev_b16_e32 v59, 9, v29
	v_mul_lo_u16_e32 v29, 3, v59
	v_sub_u16_e32 v28, v28, v29
	v_and_b32_e32 v60, 0xff, v28
	v_lshlrev_b32_e32 v28, 4, v60
	global_load_dwordx4 v[28:31], v28, s[0:1]
	v_mul_u32_u24_e32 v14, 9, v14
	v_mul_u32_u24_e32 v42, 9, v42
	v_add_lshl_u32 v152, v14, v15, 3
	v_add_lshl_u32 v151, v42, v43, 3
	s_mov_b32 s4, 0x3f5db3d7
	s_waitcnt lgkmcnt(0)
	; wave barrier
	v_mul_u32_u24_e32 v155, 9, v58
	s_waitcnt vmcnt(3)
	v_mov_b32_e32 v14, v7
	s_waitcnt vmcnt(2)
	v_mov_b32_e32 v42, v3
	v_pk_mul_f32 v[44:45], v[18:19], v[4:5] op_sel:[0,1]
	v_pk_mul_f32 v[50:51], v[20:21], v[0:1] op_sel:[0,1]
	v_pk_mul_f32 v[14:15], v[32:33], v[14:15] op_sel_hi:[1,0]
	v_pk_mul_f32 v[42:43], v[34:35], v[42:43] op_sel_hi:[1,0]
	v_pk_fma_f32 v[52:53], v[18:19], v[4:5], v[44:45] op_sel:[0,0,1] op_sel_hi:[1,1,0] neg_lo:[0,0,1] neg_hi:[0,0,1]
	v_pk_fma_f32 v[18:19], v[18:19], v[4:5], v[44:45] op_sel:[0,0,1] op_sel_hi:[1,0,0]
	s_waitcnt vmcnt(1)
	v_pk_mul_f32 v[46:47], v[38:39], v[8:9] op_sel_hi:[0,1]
	v_pk_mul_f32 v[48:49], v[36:37], v[10:11] op_sel_hi:[0,1]
	v_pk_fma_f32 v[44:45], v[36:37], v[8:9], v[46:47] op_sel:[1,0,1] op_sel_hi:[1,1,0]
	v_pk_fma_f32 v[36:37], v[36:37], v[8:9], v[46:47] op_sel:[1,0,1] op_sel_hi:[1,1,0] neg_lo:[1,0,0] neg_hi:[1,0,0]
	v_pk_fma_f32 v[46:47], v[38:39], v[10:11], v[48:49] op_sel:[1,0,1] op_sel_hi:[1,1,0]
	v_pk_fma_f32 v[38:39], v[38:39], v[10:11], v[48:49] op_sel:[1,0,1] op_sel_hi:[1,1,0] neg_lo:[1,0,0] neg_hi:[1,0,0]
	v_pk_fma_f32 v[48:49], v[20:21], v[0:1], v[50:51] op_sel:[0,0,1] op_sel_hi:[1,1,0] neg_lo:[0,0,1] neg_hi:[0,0,1]
	v_pk_fma_f32 v[20:21], v[20:21], v[0:1], v[50:51] op_sel:[0,0,1] op_sel_hi:[1,0,0]
	v_pk_fma_f32 v[50:51], v[32:33], v[6:7], v[14:15] op_sel:[0,0,1] op_sel_hi:[1,1,0] neg_lo:[0,0,1] neg_hi:[0,0,1]
	v_pk_fma_f32 v[32:33], v[32:33], v[6:7], v[14:15] op_sel:[0,0,1] op_sel_hi:[1,0,0]
	;; [unrolled: 2-line block ×3, first 2 shown]
	v_mov_b32_e32 v53, v19
	v_mov_b32_e32 v14, v37
	;; [unrolled: 1-line block ×10, first 2 shown]
	v_pk_add_f32 v[36:37], v[14:15], v[18:19]
	v_pk_add_f32 v[38:39], v[52:53], v[50:51]
	v_pk_add_f32 v[42:43], v[52:53], v[50:51] neg_lo:[0,1] neg_hi:[0,1]
	v_pk_add_f32 v[20:21], v[24:25], v[52:53]
	v_pk_add_f32 v[32:33], v[44:45], v[46:47] neg_lo:[0,1] neg_hi:[0,1]
	v_pk_add_f32 v[44:45], v[48:49], v[54:55]
	v_pk_fma_f32 v[36:37], v[36:37], 0.5, v[12:13] op_sel_hi:[1,0,1] neg_lo:[1,0,0] neg_hi:[1,0,0]
	v_pk_add_f32 v[46:47], v[48:49], v[54:55] neg_lo:[0,1] neg_hi:[0,1]
	v_pk_fma_f32 v[24:25], v[38:39], 0.5, v[24:25] op_sel_hi:[1,0,1] neg_lo:[1,0,0] neg_hi:[1,0,0]
	v_pk_mul_f32 v[38:39], v[42:43], s[4:5] op_sel_hi:[1,0]
	v_pk_add_f32 v[34:35], v[26:27], v[48:49]
	v_pk_fma_f32 v[26:27], v[44:45], 0.5, v[26:27] op_sel_hi:[1,0,1] neg_lo:[1,0,0] neg_hi:[1,0,0]
	v_pk_mul_f32 v[42:43], v[46:47], s[4:5] op_sel_hi:[1,0]
	v_pk_fma_f32 v[110:111], v[32:33], s[4:5], v[36:37] op_sel_hi:[1,0,1]
	v_pk_fma_f32 v[56:57], v[32:33], s[4:5], v[36:37] op_sel_hi:[1,0,1] neg_lo:[1,0,0] neg_hi:[1,0,0]
	v_pk_add_f32 v[32:33], v[24:25], v[38:39] op_sel:[0,1] op_sel_hi:[1,0]
	v_pk_add_f32 v[24:25], v[24:25], v[38:39] op_sel:[0,1] op_sel_hi:[1,0] neg_lo:[0,1] neg_hi:[0,1]
	v_pk_add_f32 v[20:21], v[20:21], v[50:51]
	v_pk_add_f32 v[36:37], v[26:27], v[42:43] op_sel:[0,1] op_sel_hi:[1,0]
	v_pk_add_f32 v[26:27], v[26:27], v[42:43] op_sel:[0,1] op_sel_hi:[1,0] neg_lo:[0,1] neg_hi:[0,1]
	v_mov_b32_e32 v38, v32
	v_mov_b32_e32 v39, v25
	v_pk_add_f32 v[34:35], v[34:35], v[54:55]
	v_mov_b32_e32 v25, v33
	v_mov_b32_e32 v32, v36
	;; [unrolled: 1-line block ×4, first 2 shown]
	ds_write2_b64 v152, v[20:21], v[38:39] offset1:3
	ds_write_b64 v152, v[24:25] offset:48
	ds_write2_b64 v151, v[34:35], v[32:33] offset1:3
	ds_write_b64 v151, v[26:27] offset:48
	v_mul_u32_u24_e32 v20, 9, v59
	v_add_lshl_u32 v153, v20, v60, 3
	s_waitcnt vmcnt(0)
	v_pk_mul_f32 v[20:21], v[22:23], v[28:29] op_sel:[0,1]
	s_nop 0
	v_pk_fma_f32 v[24:25], v[22:23], v[28:29], v[20:21] op_sel:[0,0,1] op_sel_hi:[1,1,0] neg_lo:[0,0,1] neg_hi:[0,0,1]
	v_pk_fma_f32 v[20:21], v[22:23], v[28:29], v[20:21] op_sel:[0,0,1] op_sel_hi:[1,0,0]
	s_nop 0
	v_mov_b32_e32 v20, v31
	v_mov_b32_e32 v25, v21
	v_pk_mul_f32 v[20:21], v[40:41], v[20:21] op_sel_hi:[1,0]
	s_nop 0
	v_pk_fma_f32 v[22:23], v[40:41], v[30:31], v[20:21] op_sel:[0,0,1] op_sel_hi:[1,1,0] neg_lo:[0,0,1] neg_hi:[0,0,1]
	v_pk_fma_f32 v[20:21], v[40:41], v[30:31], v[20:21] op_sel:[0,0,1] op_sel_hi:[1,0,0]
	s_nop 0
	v_mov_b32_e32 v23, v21
	v_pk_add_f32 v[20:21], v[16:17], v[24:25]
	v_pk_add_f32 v[26:27], v[24:25], v[22:23]
	;; [unrolled: 1-line block ×3, first 2 shown]
	v_pk_add_f32 v[22:23], v[24:25], v[22:23] neg_lo:[0,1] neg_hi:[0,1]
	v_pk_fma_f32 v[16:17], v[26:27], 0.5, v[16:17] op_sel_hi:[1,0,1] neg_lo:[1,0,0] neg_hi:[1,0,0]
	v_pk_mul_f32 v[22:23], v[22:23], s[4:5] op_sel_hi:[1,0]
	s_nop 0
	v_pk_add_f32 v[24:25], v[16:17], v[22:23] op_sel:[0,1] op_sel_hi:[1,0]
	v_pk_add_f32 v[16:17], v[16:17], v[22:23] op_sel:[0,1] op_sel_hi:[1,0] neg_lo:[0,1] neg_hi:[0,1]
	v_mov_b32_e32 v22, v24
	v_mov_b32_e32 v23, v17
	;; [unrolled: 1-line block ×3, first 2 shown]
	ds_write2_b64 v153, v[20:21], v[22:23] offset1:3
	ds_write_b64 v153, v[16:17] offset:48
	s_and_saveexec_b64 s[4:5], s[8:9]
	s_cbranch_execz .LBB0_11
; %bb.10:
	v_pk_add_f32 v[12:13], v[12:13], v[14:15]
	v_add_lshl_u32 v16, v155, v83, 3
	v_pk_add_f32 v[12:13], v[12:13], v[18:19]
	v_mov_b32_e32 v14, v110
	v_mov_b32_e32 v15, v57
	ds_write2_b64 v16, v[12:13], v[14:15] offset1:3
	v_mov_b32_e32 v12, v56
	v_mov_b32_e32 v13, v111
	ds_write_b64 v16, v[12:13] offset:48
.LBB0_11:
	s_or_b64 exec, exec, s[4:5]
	v_mov_b32_e32 v12, 57
	v_mul_lo_u16_sdwa v13, v88, v12 dst_sel:DWORD dst_unused:UNUSED_PAD src0_sel:BYTE_0 src1_sel:DWORD
	v_mul_lo_u16_sdwa v12, v80, v12 dst_sel:DWORD dst_unused:UNUSED_PAD src0_sel:BYTE_0 src1_sel:DWORD
	v_lshrrev_b16_e32 v81, 9, v12
	v_mul_lo_u16_e32 v12, 9, v81
	v_sub_u16_e32 v12, v80, v12
	v_lshrrev_b16_e32 v52, 9, v13
	v_and_b32_e32 v116, 0xff, v12
	v_mul_lo_u16_e32 v13, 9, v52
	v_lshlrev_b32_e32 v12, 5, v116
	s_waitcnt lgkmcnt(0)
	; wave barrier
	s_waitcnt lgkmcnt(0)
	global_load_dwordx4 v[36:39], v12, s[0:1] offset:64
	global_load_dwordx4 v[40:43], v12, s[0:1] offset:48
	v_sub_u16_e32 v12, v88, v13
	v_and_b32_e32 v53, 0xff, v12
	v_lshlrev_b32_e32 v12, 5, v53
	global_load_dwordx4 v[32:35], v12, s[0:1] offset:48
	global_load_dwordx4 v[24:27], v12, s[0:1] offset:64
	ds_read2_b64 v[12:15], v82 offset1:63
	ds_read2_b64 v[16:19], v82 offset0:126 offset1:189
	v_add_u32_e32 v117, 0x400, v82
	v_add_u32_e32 v48, 0xc00, v82
	;; [unrolled: 1-line block ×3, first 2 shown]
	ds_read2_b64 v[20:23], v117 offset0:124 offset1:187
	ds_read2_b64 v[44:47], v118 offset0:122 offset1:185
	;; [unrolled: 1-line block ×3, first 2 shown]
	v_mul_u32_u24_e32 v52, 45, v52
	v_add_lshl_u32 v154, v52, v53, 3
	s_mov_b32 s6, 0x3f737871
	s_mov_b32 s18, 0x3f167918
	;; [unrolled: 1-line block ×3, first 2 shown]
	s_waitcnt lgkmcnt(0)
	; wave barrier
	s_waitcnt vmcnt(3) lgkmcnt(0)
	v_pk_mul_f32 v[58:59], v[46:47], v[36:37] op_sel:[0,1]
	s_waitcnt vmcnt(2)
	v_pk_mul_f32 v[52:53], v[18:19], v[40:41] op_sel:[0,1]
	v_mov_b32_e32 v54, v43
	v_mov_b32_e32 v60, v39
	v_pk_fma_f32 v[70:71], v[18:19], v[40:41], v[52:53] op_sel:[0,0,1] op_sel_hi:[1,1,0] neg_lo:[0,0,1] neg_hi:[0,0,1]
	v_pk_fma_f32 v[18:19], v[18:19], v[40:41], v[52:53] op_sel:[0,0,1] op_sel_hi:[1,0,0]
	v_pk_mul_f32 v[52:53], v[22:23], v[54:55] op_sel_hi:[1,0]
	v_pk_fma_f32 v[54:55], v[46:47], v[36:37], v[58:59] op_sel:[0,0,1] op_sel_hi:[1,1,0] neg_lo:[0,0,1] neg_hi:[0,0,1]
	v_pk_fma_f32 v[46:47], v[46:47], v[36:37], v[58:59] op_sel:[0,0,1] op_sel_hi:[1,0,0]
	v_pk_mul_f32 v[58:59], v[50:51], v[60:61] op_sel_hi:[1,0]
	s_waitcnt vmcnt(1)
	v_pk_mul_f32 v[62:63], v[16:17], v[32:33] op_sel:[0,1]
	v_mov_b32_e32 v64, v35
	s_waitcnt vmcnt(0)
	v_pk_mul_f32 v[66:67], v[44:45], v[24:25] op_sel:[0,1]
	v_mov_b32_e32 v68, v27
	v_mov_b32_e32 v71, v19
	v_pk_fma_f32 v[18:19], v[22:23], v[42:43], v[52:53] op_sel:[0,0,1] op_sel_hi:[1,1,0] neg_lo:[0,0,1] neg_hi:[0,0,1]
	v_pk_fma_f32 v[22:23], v[22:23], v[42:43], v[52:53] op_sel:[0,0,1] op_sel_hi:[1,0,0]
	v_mov_b32_e32 v55, v47
	v_pk_fma_f32 v[46:47], v[50:51], v[38:39], v[58:59] op_sel:[0,0,1] op_sel_hi:[1,1,0] neg_lo:[0,0,1] neg_hi:[0,0,1]
	v_pk_fma_f32 v[50:51], v[50:51], v[38:39], v[58:59] op_sel:[0,0,1] op_sel_hi:[1,0,0]
	v_pk_fma_f32 v[60:61], v[16:17], v[32:33], v[62:63] op_sel:[0,0,1] op_sel_hi:[1,1,0] neg_lo:[0,0,1] neg_hi:[0,0,1]
	v_pk_fma_f32 v[16:17], v[16:17], v[32:33], v[62:63] op_sel:[0,0,1] op_sel_hi:[1,0,0]
	v_pk_mul_f32 v[62:63], v[20:21], v[64:65] op_sel_hi:[1,0]
	v_pk_fma_f32 v[64:65], v[44:45], v[24:25], v[66:67] op_sel:[0,0,1] op_sel_hi:[1,1,0] neg_lo:[0,0,1] neg_hi:[0,0,1]
	v_pk_fma_f32 v[44:45], v[44:45], v[24:25], v[66:67] op_sel:[0,0,1] op_sel_hi:[1,0,0]
	v_pk_mul_f32 v[66:67], v[48:49], v[68:69] op_sel_hi:[1,0]
	v_mov_b32_e32 v19, v23
	v_mov_b32_e32 v47, v51
	;; [unrolled: 1-line block ×3, first 2 shown]
	v_pk_fma_f32 v[16:17], v[20:21], v[34:35], v[62:63] op_sel:[0,0,1] op_sel_hi:[1,1,0] neg_lo:[0,0,1] neg_hi:[0,0,1]
	v_pk_fma_f32 v[20:21], v[20:21], v[34:35], v[62:63] op_sel:[0,0,1] op_sel_hi:[1,0,0]
	v_mov_b32_e32 v65, v45
	v_pk_fma_f32 v[44:45], v[48:49], v[26:27], v[66:67] op_sel:[0,0,1] op_sel_hi:[1,1,0] neg_lo:[0,0,1] neg_hi:[0,0,1]
	v_pk_fma_f32 v[48:49], v[48:49], v[26:27], v[66:67] op_sel:[0,0,1] op_sel_hi:[1,0,0]
	v_pk_add_f32 v[22:23], v[18:19], v[54:55]
	v_pk_add_f32 v[52:53], v[70:71], v[18:19] neg_lo:[0,1] neg_hi:[0,1]
	v_pk_add_f32 v[58:59], v[46:47], v[54:55] neg_lo:[0,1] neg_hi:[0,1]
	v_pk_add_f32 v[62:63], v[70:71], v[46:47]
	v_mov_b32_e32 v45, v49
	v_pk_add_f32 v[48:49], v[70:71], v[46:47] neg_lo:[0,1] neg_hi:[0,1]
	v_pk_add_f32 v[50:51], v[18:19], v[54:55] neg_lo:[0,1] neg_hi:[0,1]
	;; [unrolled: 1-line block ×4, first 2 shown]
	v_pk_fma_f32 v[22:23], v[22:23], 0.5, v[14:15] op_sel_hi:[1,0,1] neg_lo:[1,0,0] neg_hi:[1,0,0]
	v_pk_add_f32 v[52:53], v[52:53], v[58:59]
	v_pk_fma_f32 v[58:59], v[62:63], 0.5, v[14:15] op_sel_hi:[1,0,1] neg_lo:[1,0,0] neg_hi:[1,0,0]
	v_pk_add_f32 v[66:67], v[66:67], v[68:69]
	v_pk_fma_f32 v[62:63], v[48:49], s[6:7], v[22:23] op_sel:[1,0,0] op_sel_hi:[0,0,1] neg_lo:[1,0,0] neg_hi:[1,0,0]
	v_pk_fma_f32 v[22:23], v[48:49], s[6:7], v[22:23] op_sel:[1,0,0] op_sel_hi:[0,0,1]
	v_pk_fma_f32 v[68:69], v[50:51], s[6:7], v[58:59] op_sel:[1,0,0] op_sel_hi:[0,0,1]
	v_pk_fma_f32 v[58:59], v[50:51], s[6:7], v[58:59] op_sel:[1,0,0] op_sel_hi:[0,0,1] neg_lo:[1,0,0] neg_hi:[1,0,0]
	v_pk_fma_f32 v[22:23], v[50:51], s[18:19], v[22:23] op_sel:[1,0,0] op_sel_hi:[0,0,1]
	v_pk_fma_f32 v[50:51], v[50:51], s[18:19], v[62:63] op_sel:[1,0,0] op_sel_hi:[0,0,1] neg_lo:[1,0,0] neg_hi:[1,0,0]
	;; [unrolled: 2-line block ×3, first 2 shown]
	v_mov_b32_e32 v17, v21
	v_mov_b32_e32 v62, v50
	;; [unrolled: 1-line block ×5, first 2 shown]
	v_pk_fma_f32 v[76:77], v[52:53], s[4:5], v[62:63] op_sel_hi:[1,0,1]
	v_pk_fma_f32 v[62:63], v[66:67], s[4:5], v[68:69] op_sel_hi:[1,0,1]
	v_pk_add_f32 v[68:69], v[16:17], v[64:65]
	v_pk_add_f32 v[72:73], v[60:61], v[44:45] neg_lo:[0,1] neg_hi:[0,1]
	v_pk_fma_f32 v[68:69], v[68:69], 0.5, v[12:13] op_sel_hi:[1,0,1] neg_lo:[1,0,0] neg_hi:[1,0,0]
	v_pk_mul_f32 v[74:75], v[72:73], s[6:7] op_sel_hi:[1,0]
	v_pk_add_f32 v[78:79], v[16:17], v[64:65] neg_lo:[0,1] neg_hi:[0,1]
	v_pk_add_f32 v[112:113], v[60:61], v[16:17] neg_lo:[0,1] neg_hi:[0,1]
	;; [unrolled: 1-line block ×3, first 2 shown]
	v_pk_add_f32 v[20:21], v[12:13], v[60:61]
	v_pk_mul_f32 v[108:109], v[78:79], s[18:19] op_sel_hi:[1,0]
	v_pk_add_f32 v[112:113], v[112:113], v[114:115]
	v_pk_add_f32 v[114:115], v[68:69], v[74:75] op_sel:[0,1] op_sel_hi:[1,0]
	v_pk_add_f32 v[68:69], v[68:69], v[74:75] op_sel:[0,1] op_sel_hi:[1,0] neg_lo:[0,1] neg_hi:[0,1]
	v_pk_add_f32 v[20:21], v[20:21], v[16:17]
	v_pk_add_f32 v[68:69], v[68:69], v[108:109] op_sel:[0,1] op_sel_hi:[1,0] neg_lo:[0,1] neg_hi:[0,1]
	v_pk_add_f32 v[74:75], v[114:115], v[108:109] op_sel:[0,1] op_sel_hi:[1,0]
	v_pk_add_f32 v[20:21], v[20:21], v[64:65]
	v_mov_b32_e32 v108, v74
	v_mov_b32_e32 v109, v69
	v_pk_add_f32 v[20:21], v[20:21], v[44:45]
	v_pk_fma_f32 v[108:109], v[112:113], s[4:5], v[108:109] op_sel_hi:[1,0,1]
	ds_write2_b64 v154, v[20:21], v[108:109] offset1:9
	v_pk_add_f32 v[20:21], v[60:61], v[44:45]
	v_pk_add_f32 v[16:17], v[16:17], v[60:61] neg_lo:[0,1] neg_hi:[0,1]
	v_pk_fma_f32 v[12:13], v[20:21], 0.5, v[12:13] op_sel_hi:[1,0,1] neg_lo:[1,0,0] neg_hi:[1,0,0]
	v_pk_add_f32 v[20:21], v[64:65], v[44:45] neg_lo:[0,1] neg_hi:[0,1]
	v_pk_mul_f32 v[44:45], v[72:73], s[18:19] op_sel_hi:[1,0]
	v_pk_add_f32 v[16:17], v[16:17], v[20:21]
	v_pk_mul_f32 v[20:21], v[78:79], s[6:7] op_sel_hi:[1,0]
	v_mov_b32_e32 v69, v75
	v_pk_add_f32 v[60:61], v[12:13], v[20:21] op_sel:[0,1] op_sel_hi:[1,0] neg_lo:[0,1] neg_hi:[0,1]
	v_pk_add_f32 v[12:13], v[12:13], v[20:21] op_sel:[0,1] op_sel_hi:[1,0]
	v_pk_add_f32 v[20:21], v[60:61], v[44:45] op_sel:[0,1] op_sel_hi:[1,0]
	v_pk_add_f32 v[12:13], v[12:13], v[44:45] op_sel:[0,1] op_sel_hi:[1,0] neg_lo:[0,1] neg_hi:[0,1]
	v_mov_b32_e32 v44, v20
	v_mov_b32_e32 v45, v13
	;; [unrolled: 1-line block ×3, first 2 shown]
	v_pk_fma_f32 v[44:45], v[16:17], s[4:5], v[44:45] op_sel_hi:[1,0,1]
	v_pk_fma_f32 v[12:13], v[16:17], s[4:5], v[12:13] op_sel_hi:[1,0,1]
	ds_write2_b64 v154, v[44:45], v[12:13] offset0:18 offset1:27
	v_pk_fma_f32 v[12:13], v[112:113], s[4:5], v[68:69] op_sel_hi:[1,0,1]
	ds_write_b64 v154, v[12:13] offset:288
	v_mul_u32_u24_e32 v12, 45, v81
	v_add_lshl_u32 v156, v12, v116, 3
	v_pk_add_f32 v[12:13], v[14:15], v[70:71]
	v_mov_b32_e32 v23, v51
	v_pk_add_f32 v[12:13], v[12:13], v[18:19]
	v_mov_b32_e32 v59, v49
	v_pk_add_f32 v[12:13], v[12:13], v[54:55]
	v_pk_fma_f32 v[14:15], v[52:53], s[4:5], v[22:23] op_sel_hi:[1,0,1]
	v_pk_add_f32 v[12:13], v[12:13], v[46:47]
	v_pk_fma_f32 v[60:61], v[66:67], s[4:5], v[58:59] op_sel_hi:[1,0,1]
	ds_write2_b64 v156, v[12:13], v[14:15] offset1:9
	ds_write2_b64 v156, v[60:61], v[62:63] offset0:18 offset1:27
	ds_write_b64 v156, v[76:77] offset:288
	s_waitcnt lgkmcnt(0)
	; wave barrier
	s_waitcnt lgkmcnt(0)
	ds_read2_b64 v[64:67], v82 offset1:90
	ds_read2_b64 v[68:71], v117 offset0:52 offset1:142
	ds_read2_b64 v[72:75], v118 offset0:104 offset1:194
	ds_read_b64 v[112:113], v82 offset:4320
	v_cmp_gt_u16_e64 s[4:5], 27, v88
	v_cmp_lt_u16_e64 s[6:7], 26, v88
	s_and_saveexec_b64 s[18:19], s[6:7]
	s_xor_b64 s[18:19], exec, s[18:19]
	s_or_saveexec_b64 s[18:19], s[18:19]
                                        ; implicit-def: $vgpr114
	s_xor_b64 exec, exec, s[18:19]
	s_cbranch_execz .LBB0_13
; %bb.12:
	v_add_u32_e32 v12, 0x400, v82
	ds_read2_b64 v[76:79], v12 offset0:115 offset1:205
	v_add_u32_e32 v12, 0xc00, v82
	ds_read2_b64 v[56:59], v12 offset0:39 offset1:129
	ds_read2_b64 v[60:63], v82 offset0:63 offset1:153
	ds_read_b64 v[114:115], v82 offset:4824
	s_waitcnt lgkmcnt(2)
	v_mov_b32_e32 v111, v57
	v_mov_b32_e32 v110, v78
	;; [unrolled: 1-line block ×3, first 2 shown]
.LBB0_13:
	s_or_b64 exec, exec, s[18:19]
	v_subrev_u32_e32 v12, 45, v88
	v_cmp_gt_u16_e32 vcc, 45, v88
	s_movk_i32 s18, 0x6d
	v_mov_b32_e32 v118, v77
	v_cndmask_b32_e32 v117, v12, v88, vcc
	v_mul_hi_i32_i24_e32 v13, 48, v117
	v_mul_i32_i24_e32 v12, 48, v117
	v_lshl_add_u64 v[12:13], s[0:1], 0, v[12:13]
	global_load_dwordx4 v[44:47], v[12:13], off offset:368
	global_load_dwordx4 v[52:55], v[12:13], off offset:352
	;; [unrolled: 1-line block ×3, first 2 shown]
	v_mul_lo_u16_sdwa v12, v80, s18 dst_sel:DWORD dst_unused:UNUSED_PAD src0_sel:BYTE_0 src1_sel:DWORD
	v_sub_u16_sdwa v13, v80, v12 dst_sel:DWORD dst_unused:UNUSED_PAD src0_sel:DWORD src1_sel:BYTE_1
	v_lshrrev_b16_e32 v13, 1, v13
	v_and_b32_e32 v13, 0x7f, v13
	v_add_u16_sdwa v12, v13, v12 dst_sel:DWORD dst_unused:UNUSED_PAD src0_sel:DWORD src1_sel:BYTE_1
	v_lshrrev_b16_e32 v12, 5, v12
	v_mul_lo_u16_e32 v12, 45, v12
	v_sub_u16_e32 v150, v80, v12
	v_and_b32_e32 v116, 0xff, v150
	v_mad_u64_u32 v[78:79], s[18:19], v116, 48, s[0:1]
	global_load_dwordx4 v[20:23], v[78:79], off offset:352
	global_load_dwordx4 v[12:15], v[78:79], off offset:336
	global_load_dwordx4 v[16:19], v[78:79], off offset:368
	v_mov_b32_e32 v78, v57
	s_waitcnt lgkmcnt(1)
	v_mov_b32_e32 v80, v63
	s_waitcnt lgkmcnt(0)
	v_mov_b32_e32 v122, v115
	v_mov_b32_e32 v124, v111
	;; [unrolled: 1-line block ×3, first 2 shown]
	s_mov_b32 s26, 0x3d64c772
	s_mov_b32 s27, 0x3f4a47b2
	;; [unrolled: 1-line block ×7, first 2 shown]
	v_cmp_lt_u16_e32 vcc, 44, v88
	s_mov_b32 s28, 0x3eae86e6
	s_mov_b32 s29, s30
	s_waitcnt lgkmcnt(0)
	; wave barrier
	s_waitcnt vmcnt(5)
	v_mul_f32_e32 v81, v75, v45
	s_waitcnt vmcnt(4)
	v_mul_f32_e32 v119, v73, v54
	;; [unrolled: 2-line block ×3, first 2 shown]
	v_mul_f32_e32 v121, v72, v55
	v_fma_f32 v128, v68, v50, -v79
	v_fma_f32 v130, v74, v44, -v81
	v_mul_f32_e32 v129, v71, v52
	v_mul_f32_e32 v131, v70, v53
	s_waitcnt vmcnt(2)
	v_pk_mul_f32 v[132:133], v[56:57], v[20:21] op_sel:[0,1] op_sel_hi:[1,0]
	s_waitcnt vmcnt(1)
	v_pk_mul_f32 v[134:135], v[62:63], v[12:13]
	s_waitcnt vmcnt(0)
	v_pk_mul_f32 v[138:139], v[58:59], v[16:17]
	v_mov_b32_e32 v132, v13
	v_pk_mul_f32 v[136:137], v[76:77], v[14:15]
	v_mov_b32_e32 v134, v15
	;; [unrolled: 2-line block ×3, first 2 shown]
	v_mov_b32_e32 v108, v23
	v_mov_b32_e32 v109, v22
	;; [unrolled: 1-line block ×5, first 2 shown]
	v_pk_mul_f32 v[132:133], v[62:63], v[132:133]
	v_pk_mul_f32 v[134:135], v[76:77], v[134:135]
	v_mov_b32_e32 v146, v139
	v_mov_b32_e32 v148, v141
	v_pk_mul_f32 v[138:139], v[114:115], v[138:139]
	v_pk_mul_f32 v[158:159], v[110:111], v[108:109]
	v_pk_mul_f32 v[78:79], v[78:79], v[20:21] op_sel:[0,1] op_sel_hi:[1,0]
	v_mov_b32_e32 v144, v137
	v_pk_mul_f32 v[136:137], v[58:59], v[136:137]
	v_pk_mul_f32 v[124:125], v[124:125], v[108:109]
	v_pk_fma_f32 v[62:63], v[62:63], v[12:13], v[142:143] neg_lo:[0,0,1] neg_hi:[0,0,1]
	v_pk_fma_f32 v[80:81], v[80:81], v[12:13], v[132:133]
	v_pk_fma_f32 v[132:133], v[118:119], v[14:15], v[134:135]
	v_pk_fma_f32 v[114:115], v[114:115], v[18:19], v[148:149] neg_lo:[0,0,1] neg_hi:[0,0,1]
	v_pk_fma_f32 v[122:123], v[122:123], v[18:19], v[138:139] op_sel_hi:[0,1,1]
	v_mov_b32_e32 v118, v159
	v_pk_fma_f32 v[78:79], v[110:111], v[20:21], v[78:79] neg_lo:[0,0,1] neg_hi:[0,0,1]
	v_pk_fma_f32 v[110:111], v[110:111], v[20:21], v[140:141] op_sel:[0,1,0] op_sel_hi:[1,0,1]
	v_pk_fma_f32 v[76:77], v[76:77], v[14:15], v[144:145] neg_lo:[0,0,1] neg_hi:[0,0,1]
	v_pk_fma_f32 v[58:59], v[58:59], v[16:17], v[146:147] neg_lo:[0,0,1] neg_hi:[0,0,1]
	v_pk_fma_f32 v[134:135], v[120:121], v[16:17], v[136:137] op_sel_hi:[0,1,1]
	v_pk_fma_f32 v[124:125], v[56:57], v[22:23], v[124:125] neg_lo:[0,0,1] neg_hi:[0,0,1]
	v_pk_add_f32 v[138:139], v[80:81], v[122:123]
	v_pk_fma_f32 v[56:57], v[56:57], v[108:109], v[118:119]
	v_mov_b32_e32 v81, v62
	v_mov_b32_e32 v123, v114
	v_pk_add_f32 v[136:137], v[62:63], v[114:115]
	v_pk_add_f32 v[140:141], v[76:77], v[58:59]
	v_pk_add_f32 v[58:59], v[76:77], v[58:59] neg_lo:[0,1] neg_hi:[0,1]
	v_pk_add_f32 v[76:77], v[132:133], v[134:135] neg_lo:[0,1] neg_hi:[0,1]
	v_pk_add_f32 v[62:63], v[78:79], v[124:125]
	v_pk_add_f32 v[78:79], v[124:125], v[78:79] neg_lo:[0,1] neg_hi:[0,1]
	v_pk_add_f32 v[80:81], v[80:81], v[122:123] neg_lo:[0,1] neg_hi:[0,1]
	v_pk_add_f32 v[122:123], v[110:111], v[56:57]
	v_pk_add_f32 v[56:57], v[56:57], v[110:111] neg_lo:[0,1] neg_hi:[0,1]
	v_pk_add_f32 v[142:143], v[132:133], v[134:135]
	v_mov_b32_e32 v77, v58
	v_mov_b32_e32 v57, v78
	v_pk_add_f32 v[114:115], v[140:141], v[136:137]
	v_pk_add_f32 v[124:125], v[142:143], v[138:139]
	v_mov_b32_e32 v141, v142
	v_mov_b32_e32 v137, v138
	;; [unrolled: 1-line block ×3, first 2 shown]
	v_pk_add_f32 v[132:133], v[56:57], v[76:77]
	v_pk_add_f32 v[58:59], v[140:141], v[136:137] neg_lo:[0,1] neg_hi:[0,1]
	v_pk_add_f32 v[110:111], v[62:63], v[140:141] neg_lo:[0,1] neg_hi:[0,1]
	v_pk_add_f32 v[134:135], v[56:57], v[76:77] neg_lo:[0,1] neg_hi:[0,1]
	v_sub_f32_e32 v137, v80, v56
	v_pk_add_f32 v[56:57], v[76:77], v[80:81] neg_lo:[0,1] neg_hi:[0,1]
	v_mov_b32_e32 v63, v124
	v_mov_b32_e32 v115, v122
	v_pk_add_f32 v[76:77], v[132:133], v[80:81]
	v_sub_f32_e32 v118, v136, v62
	v_sub_f32_e32 v120, v138, v122
	;; [unrolled: 1-line block ×3, first 2 shown]
	v_pk_add_f32 v[62:63], v[62:63], v[114:115]
	v_pk_mul_f32 v[78:79], v[110:111], s[26:27] op_sel_hi:[1,0]
	v_pk_mul_f32 v[80:81], v[58:59], s[20:21] op_sel_hi:[1,0]
	;; [unrolled: 1-line block ×3, first 2 shown]
	s_mov_b32 s19, 0xbf4a47b2
	v_pk_add_f32 v[60:61], v[60:61], v[62:63]
	v_pk_mul_f32 v[114:115], v[134:135], s[30:31] op_sel_hi:[1,0]
	v_pk_mul_f32 v[122:123], v[56:57], s[22:23] op_sel_hi:[1,0]
	v_fmamk_f32 v125, v118, 0x3f4a47b2, v78
	v_pk_fma_f32 v[58:59], v[58:59], s[20:21], v[78:79] op_sel_hi:[1,0,1] neg_lo:[0,0,1] neg_hi:[0,0,1]
	v_fma_f32 v124, v118, s19, -v80
	v_fma_f32 v78, v120, s19, -v81
	s_mov_b32 s19, 0xbeae86e6
	v_pk_fma_f32 v[62:63], v[62:63], s[24:25], v[60:61] op_sel_hi:[1,0,1] neg_lo:[1,0,0] neg_hi:[1,0,0]
	v_fmac_f32_e32 v79, 0x3f4a47b2, v120
	v_fmamk_f32 v81, v136, 0x3eae86e6, v115
	v_pk_fma_f32 v[56:57], v[56:57], s[22:23], v[114:115] op_sel_hi:[1,0,1] neg_lo:[0,0,1] neg_hi:[0,0,1]
	v_fma_f32 v80, v136, s19, -v123
	v_pk_add_f32 v[58:59], v[58:59], v[62:63]
	v_pk_fma_f32 v[132:133], v[76:77], s[18:19], v[56:57] op_sel_hi:[1,0,1]
	v_pk_add_f32 v[76:77], v[78:79], v[62:63] op_sel:[0,1]
	v_pk_add_f32 v[78:79], v[110:111], v[80:81] op_sel:[1,0]
	v_pk_add_f32 v[80:81], v[124:125], v[62:63] op_sel_hi:[1,0]
	v_pk_mul_f32 v[124:125], v[66:67], v[48:49] op_sel_hi:[1,0]
	v_pk_add_f32 v[56:57], v[58:59], v[132:133]
	v_pk_add_f32 v[58:59], v[58:59], v[132:133] neg_lo:[0,1] neg_hi:[0,1]
	v_pk_fma_f32 v[132:133], v[66:67], v[48:49], v[124:125] op_sel:[0,1,1] op_sel_hi:[1,1,0]
	v_pk_fma_f32 v[66:67], v[66:67], v[48:49], v[124:125] op_sel:[0,1,1] op_sel_hi:[1,1,0] neg_lo:[1,0,0] neg_hi:[1,0,0]
	v_mov_b32_e32 v124, v69
	v_mov_b32_e32 v125, v72
	;; [unrolled: 1-line block ×7, first 2 shown]
	v_pk_mul_f32 v[68:69], v[68:69], v[72:73]
	v_mov_b32_e32 v118, 0x13b
	v_pk_fma_f32 v[72:73], v[124:125], v[50:51], v[68:69]
	v_pk_fma_f32 v[68:69], v[124:125], v[134:135], v[68:69] neg_lo:[0,0,1] neg_hi:[0,0,1]
	v_mov_b32_e32 v124, v75
	v_mov_b32_e32 v125, v70
	;; [unrolled: 1-line block ×7, first 2 shown]
	v_pk_mul_f32 v[70:71], v[74:75], v[70:71]
	v_mov_b32_e32 v66, v47
	v_pk_fma_f32 v[74:75], v[124:125], v[44:45], v[70:71]
	v_pk_fma_f32 v[70:71], v[124:125], v[134:135], v[70:71] neg_lo:[0,0,1] neg_hi:[0,0,1]
	v_pk_mul_f32 v[124:125], v[112:113], v[46:47] op_sel_hi:[1,0]
	v_fmac_f32_e32 v114, 0x3eae86e6, v137
	v_cndmask_b32_e32 v118, 0, v118, vcc
	v_pk_fma_f32 v[134:135], v[112:113], v[66:67], v[124:125] op_sel:[0,0,1] op_sel_hi:[1,0,0]
	v_pk_fma_f32 v[112:113], v[112:113], v[66:67], v[124:125] op_sel:[0,0,1] op_sel_hi:[1,0,0] neg_lo:[1,0,0] neg_hi:[1,0,0]
	v_fma_f32 v122, v137, s19, -v122
	v_mov_b32_e32 v123, v114
	v_add_lshl_u32 v157, v117, v118, 3
	v_mov_b32_e32 v133, v67
	v_mov_b32_e32 v73, v69
	;; [unrolled: 1-line block ×6, first 2 shown]
	v_pk_add_f32 v[114:115], v[110:111], v[122:123] op_sel_hi:[0,1]
	v_pk_add_f32 v[122:123], v[128:129], v[130:131]
	v_pk_add_f32 v[124:125], v[132:133], v[134:135]
	v_pk_add_f32 v[132:133], v[132:133], v[134:135] neg_lo:[0,1] neg_hi:[0,1]
	v_pk_add_f32 v[134:135], v[72:73], v[74:75]
	v_pk_add_f32 v[66:67], v[118:119], v[120:121]
	v_pk_add_f32 v[72:73], v[72:73], v[74:75] neg_lo:[0,1] neg_hi:[0,1]
	v_mov_b32_e32 v74, v67
	v_mov_b32_e32 v75, v128
	;; [unrolled: 1-line block ×8, first 2 shown]
	v_pk_add_f32 v[74:75], v[74:75], v[112:113] neg_lo:[0,1] neg_hi:[0,1]
	v_pk_add_f32 v[130:131], v[122:123], v[66:67]
	v_pk_add_f32 v[68:69], v[70:71], v[68:69]
	v_mov_b32_e32 v120, v74
	v_mov_b32_e32 v121, v133
	;; [unrolled: 1-line block ×7, first 2 shown]
	v_pk_add_f32 v[120:121], v[120:121], v[72:73] neg_lo:[0,1] neg_hi:[0,1]
	s_mov_b32 s31, s28
	v_pk_add_f32 v[70:71], v[70:71], v[122:123] neg_lo:[0,1] neg_hi:[0,1]
	v_mov_b32_e32 v67, v131
	v_mov_b32_e32 v136, v68
	;; [unrolled: 1-line block ×3, first 2 shown]
	v_pk_add_f32 v[68:69], v[130:131], v[68:69]
	v_pk_add_f32 v[112:113], v[112:113], v[74:75] neg_lo:[0,1] neg_hi:[0,1]
	v_pk_mul_f32 v[120:121], v[120:121], s[30:31]
	v_pk_add_f32 v[128:129], v[72:73], v[74:75]
	v_pk_add_f32 v[136:137], v[66:67], v[136:137] neg_lo:[0,1] neg_hi:[0,1]
	v_pk_add_f32 v[64:65], v[64:65], v[68:69]
	v_pk_mul_f32 v[70:71], v[70:71], s[26:27]
	s_mov_b32 s30, s27
	s_mov_b32 s31, s26
	v_pk_mul_f32 v[118:119], v[112:113], s[28:29]
	v_pk_add_f32 v[128:129], v[128:129], v[132:133]
	v_pk_mul_f32 v[130:131], v[136:137], s[30:31]
	v_pk_fma_f32 v[68:69], v[68:69], s[24:25], v[64:65] op_sel_hi:[1,0,1] neg_lo:[1,0,0] neg_hi:[1,0,0]
	v_pk_fma_f32 v[136:137], v[136:137], s[30:31], v[70:71]
	v_pk_fma_f32 v[112:113], v[112:113], s[28:29], v[120:121]
	v_pk_add_f32 v[136:137], v[136:137], v[68:69]
	v_pk_fma_f32 v[112:113], v[128:129], s[18:19], v[112:113] op_sel_hi:[1,0,1]
	v_mov_b32_e32 v73, v75
	v_pk_add_f32 v[138:139], v[136:137], v[112:113]
	v_pk_add_f32 v[112:113], v[136:137], v[112:113] neg_lo:[0,1] neg_hi:[0,1]
	v_mov_b32_e32 v136, v138
	v_mov_b32_e32 v137, v113
	;; [unrolled: 1-line block ×4, first 2 shown]
	ds_write2_b64 v157, v[64:65], v[136:137] offset1:45
	v_pk_add_f32 v[64:65], v[72:73], v[132:133] neg_lo:[0,1] neg_hi:[0,1]
	v_pk_add_f32 v[66:67], v[122:123], v[66:67] neg_lo:[0,1] neg_hi:[0,1]
	v_mov_b32_e32 v72, v130
	v_mov_b32_e32 v73, v71
	;; [unrolled: 1-line block ×6, first 2 shown]
	v_pk_fma_f32 v[72:73], v[66:67], s[20:21], v[72:73] op_sel_hi:[1,0,1] neg_lo:[1,0,1] neg_hi:[1,0,1]
	v_pk_fma_f32 v[74:75], v[64:65], s[22:23], v[74:75] op_sel_hi:[1,0,1] neg_lo:[1,0,1] neg_hi:[1,0,1]
	;; [unrolled: 1-line block ×4, first 2 shown]
	v_pk_add_f32 v[72:73], v[72:73], v[68:69]
	v_pk_fma_f32 v[74:75], v[128:129], s[18:19], v[74:75] op_sel_hi:[1,0,1]
	v_pk_add_f32 v[66:67], v[66:67], v[68:69]
	v_pk_fma_f32 v[64:65], v[128:129], s[18:19], v[64:65] op_sel_hi:[1,0,1]
	v_pk_add_f32 v[122:123], v[72:73], v[74:75]
	v_pk_add_f32 v[72:73], v[72:73], v[74:75] neg_lo:[0,1] neg_hi:[0,1]
	v_pk_add_f32 v[68:69], v[66:67], v[64:65] neg_lo:[0,1] neg_hi:[0,1]
	v_pk_add_f32 v[64:65], v[66:67], v[64:65]
	v_mov_b32_e32 v62, v58
	v_mov_b32_e32 v63, v57
	;; [unrolled: 1-line block ×3, first 2 shown]
	v_pk_add_f32 v[58:59], v[80:81], v[114:115] neg_lo:[0,1] neg_hi:[0,1]
	v_pk_add_f32 v[110:111], v[78:79], v[76:77]
	v_mov_b32_e32 v74, v122
	v_mov_b32_e32 v75, v73
	;; [unrolled: 1-line block ×7, first 2 shown]
	ds_write2_b64 v157, v[74:75], v[66:67] offset0:90 offset1:135
	ds_write2_b64 v157, v[64:65], v[72:73] offset0:180 offset1:225
	ds_write_b64 v157, v[112:113] offset:2160
	s_and_saveexec_b64 s[18:19], s[4:5]
	s_cbranch_execz .LBB0_15
; %bb.14:
	v_mov_b32_e32 v64, v115
	v_mov_b32_e32 v66, v81
	v_lshlrev_b32_e32 v68, 3, v116
	v_pk_add_f32 v[64:65], v[64:65], v[66:67]
	v_pk_add_f32 v[66:67], v[76:77], v[78:79] neg_lo:[0,1] neg_hi:[0,1]
	v_add_u32_e32 v69, 0x800, v68
	v_mov_b32_e32 v65, v67
	ds_write2_b64 v69, v[60:61], v[64:65] offset0:59 offset1:104
	v_mov_b32_e32 v61, v76
	v_mov_b32_e32 v64, v80
	v_mov_b32_e32 v65, v78
	v_pk_add_f32 v[66:67], v[114:115], v[80:81]
	v_pk_add_f32 v[60:61], v[60:61], v[64:65] neg_lo:[0,1] neg_hi:[0,1]
	v_add_u32_e32 v64, 0xc00, v68
	v_mov_b32_e32 v67, v61
	v_mov_b32_e32 v60, v58
	;; [unrolled: 1-line block ×3, first 2 shown]
	ds_write2_b64 v64, v[56:57], v[60:61] offset0:111 offset1:156
	v_mov_b32_e32 v60, v59
	v_mov_b32_e32 v61, v111
	ds_write2_b64 v69, v[66:67], v[62:63] offset0:149 offset1:194
	ds_write_b64 v68, v[60:61] offset:4680
.LBB0_15:
	s_or_b64 exec, exec, s[18:19]
	v_lshlrev_b32_e32 v60, 3, v88
	v_mov_b32_e32 v61, 0
	v_lshl_add_u64 v[64:65], s[0:1], 0, v[60:61]
	v_add_co_u32_e32 v64, vcc, 0x1000, v64
	s_waitcnt lgkmcnt(0)
	; wave barrier
	s_waitcnt lgkmcnt(0)
	global_load_dwordx2 v[116:117], v60, s[0:1] offset:3504
	global_load_dwordx2 v[120:121], v60, s[0:1] offset:2496
	;; [unrolled: 1-line block ×4, first 2 shown]
	v_addc_co_u32_e32 v65, vcc, 0, v65, vcc
	global_load_dwordx2 v[114:115], v[64:65], off offset:416
	v_add_u32_e32 v71, 0x400, v82
	v_add_u32_e32 v142, 0xc00, v82
	ds_read2_b64 v[66:69], v82 offset0:126 offset1:189
	v_add_u32_e32 v70, 0x800, v82
	ds_read2_b64 v[72:75], v82 offset1:63
	ds_read2_b64 v[76:79], v71 offset0:124 offset1:187
	ds_read2_b64 v[122:125], v142 offset0:120 offset1:183
	;; [unrolled: 1-line block ×3, first 2 shown]
	v_lshl_add_u64 v[80:81], s[16:17], 0, v[60:61]
	s_movk_i32 s18, 0x1000
	v_add_co_u32_e32 v132, vcc, s18, v80
	s_mov_b64 s[0:1], 0x13b0
	s_nop 0
	v_addc_co_u32_e32 v133, vcc, 0, v81, vcc
	v_lshl_add_u64 v[64:65], v[80:81], 0, s[0:1]
	v_add_co_u32_e32 v80, vcc, 0x2000, v80
	s_waitcnt vmcnt(4) lgkmcnt(0)
	v_pk_mul_f32 v[60:61], v[130:131], v[116:117] op_sel:[0,1]
	s_waitcnt vmcnt(3)
	v_pk_mul_f32 v[134:135], v[78:79], v[120:121] op_sel:[0,1]
	s_waitcnt vmcnt(2)
	v_pk_mul_f32 v[136:137], v[128:129], v[118:119] op_sel:[0,1]
	v_pk_fma_f32 v[140:141], v[130:131], v[116:117], v[60:61] op_sel:[0,0,1] op_sel_hi:[1,1,0] neg_lo:[0,0,1] neg_hi:[0,0,1]
	v_pk_fma_f32 v[60:61], v[130:131], v[116:117], v[60:61] op_sel:[0,0,1] op_sel_hi:[1,0,0]
	v_pk_fma_f32 v[130:131], v[78:79], v[120:121], v[134:135] op_sel:[0,0,1] op_sel_hi:[1,1,0] neg_lo:[0,0,1] neg_hi:[0,0,1]
	v_pk_fma_f32 v[78:79], v[78:79], v[120:121], v[134:135] op_sel:[0,0,1] op_sel_hi:[1,0,0]
	;; [unrolled: 2-line block ×3, first 2 shown]
	s_waitcnt vmcnt(1)
	v_pk_mul_f32 v[138:139], v[122:123], v[112:113] op_sel:[0,1]
	v_mov_b32_e32 v141, v61
	v_mov_b32_e32 v135, v129
	s_waitcnt vmcnt(0)
	v_pk_mul_f32 v[60:61], v[124:125], v[114:115] op_sel:[0,1]
	v_pk_fma_f32 v[136:137], v[122:123], v[112:113], v[138:139] op_sel:[0,0,1] op_sel_hi:[1,1,0] neg_lo:[0,0,1] neg_hi:[0,0,1]
	v_pk_fma_f32 v[122:123], v[122:123], v[112:113], v[138:139] op_sel:[0,0,1] op_sel_hi:[1,0,0]
	v_mov_b32_e32 v131, v79
	v_pk_add_f32 v[128:129], v[74:75], v[134:135] neg_lo:[0,1] neg_hi:[0,1]
	v_pk_fma_f32 v[134:135], v[124:125], v[114:115], v[60:61] op_sel:[0,0,1] op_sel_hi:[1,0,0]
	v_pk_fma_f32 v[60:61], v[124:125], v[114:115], v[60:61] op_sel:[0,0,1] op_sel_hi:[1,0,0] neg_lo:[0,0,1] neg_hi:[0,0,1]
	v_mov_b32_e32 v137, v123
	v_pk_add_f32 v[78:79], v[66:67], v[140:141] neg_lo:[0,1] neg_hi:[0,1]
	v_pk_add_f32 v[122:123], v[72:73], v[130:131] neg_lo:[0,1] neg_hi:[0,1]
	v_mov_b32_e32 v61, v135
	v_pk_add_f32 v[130:131], v[68:69], v[136:137] neg_lo:[0,1] neg_hi:[0,1]
	v_pk_fma_f32 v[72:73], v[72:73], 2.0, v[122:123] op_sel_hi:[1,0,1] neg_lo:[0,0,1] neg_hi:[0,0,1]
	v_pk_fma_f32 v[74:75], v[74:75], 2.0, v[128:129] op_sel_hi:[1,0,1] neg_lo:[0,0,1] neg_hi:[0,0,1]
	;; [unrolled: 1-line block ×3, first 2 shown]
	v_pk_add_f32 v[60:61], v[76:77], v[60:61] neg_lo:[0,1] neg_hi:[0,1]
	ds_write2_b64 v70, v[122:123], v[128:129] offset0:59 offset1:122
	v_pk_fma_f32 v[68:69], v[68:69], 2.0, v[130:131] op_sel_hi:[1,0,1] neg_lo:[0,0,1] neg_hi:[0,0,1]
	ds_write2_b64 v82, v[72:73], v[74:75] offset1:63
	ds_write_b64 v82, v[78:79] offset:3528
	ds_write2_b64 v82, v[66:67], v[68:69] offset0:126 offset1:189
	v_pk_fma_f32 v[66:67], v[76:77], 2.0, v[60:61] op_sel_hi:[1,0,1] neg_lo:[0,0,1] neg_hi:[0,0,1]
	ds_write_b64 v82, v[66:67] offset:2016
	ds_write2_b64 v142, v[130:131], v[60:61] offset0:120 offset1:183
	s_waitcnt lgkmcnt(0)
	; wave barrier
	s_waitcnt lgkmcnt(0)
	global_load_dwordx2 v[72:73], v[132:133], off offset:944
	global_load_dwordx2 v[74:75], v[64:65], off offset:504
	v_addc_co_u32_e32 v81, vcc, 0, v81, vcc
	global_load_dwordx2 v[76:77], v[80:81], off offset:1216
	s_nop 0
	global_load_dwordx2 v[80:81], v[64:65], off offset:1680
	global_load_dwordx2 v[122:123], v[64:65], off offset:3360
	;; [unrolled: 1-line block ×6, first 2 shown]
	ds_read2_b64 v[66:69], v82 offset1:63
	ds_read_b64 v[78:79], v82 offset:4368
	s_waitcnt vmcnt(6) lgkmcnt(0)
	v_mul_f32_e32 v139, v78, v77
	v_fmac_f32_e32 v139, v79, v76
	v_mul_f32_e32 v134, v67, v73
	v_mul_f32_e32 v135, v66, v73
	v_fma_f32 v134, v66, v72, -v134
	v_fmac_f32_e32 v135, v67, v72
	v_mul_f32_e32 v73, v69, v75
	v_mul_f32_e32 v137, v68, v75
	;; [unrolled: 1-line block ×3, first 2 shown]
	ds_write_b64 v82, v[134:135]
	v_fma_f32 v136, v68, v74, -v73
	v_fmac_f32_e32 v137, v69, v74
	ds_read2_b64 v[66:69], v82 offset0:126 offset1:210
	v_fma_f32 v138, v78, v76, -v75
	ds_read2_b64 v[72:75], v70 offset0:164 offset1:227
	ds_read2_b64 v[76:79], v70 offset0:17 offset1:80
	s_waitcnt vmcnt(5) lgkmcnt(2)
	v_mul_f32_e32 v134, v69, v81
	v_mul_f32_e32 v135, v68, v81
	s_waitcnt vmcnt(4) lgkmcnt(1)
	v_mul_f32_e32 v140, v73, v123
	v_mul_f32_e32 v81, v72, v123
	;; [unrolled: 3-line block ×3, first 2 shown]
	s_waitcnt vmcnt(2)
	v_mul_f32_e32 v143, v75, v129
	v_mul_f32_e32 v125, v74, v129
	s_waitcnt vmcnt(1)
	v_mul_f32_e32 v144, v67, v131
	v_mul_f32_e32 v129, v66, v131
	;; [unrolled: 3-line block ×3, first 2 shown]
	v_fma_f32 v134, v68, v80, -v134
	v_fmac_f32_e32 v135, v69, v80
	v_fma_f32 v80, v72, v122, -v140
	v_fmac_f32_e32 v81, v73, v122
	;; [unrolled: 2-line block ×6, first 2 shown]
	ds_write2_b64 v71, v[134:135], v[122:123] offset0:82 offset1:145
	ds_write2_b64 v82, v[136:137], v[128:129] offset0:63 offset1:126
	;; [unrolled: 1-line block ×4, first 2 shown]
	s_and_saveexec_b64 s[0:1], s[8:9]
	s_cbranch_execz .LBB0_17
; %bb.16:
	global_load_dwordx2 v[68:69], v[64:65], off offset:1512
	global_load_dwordx2 v[72:73], v[64:65], off offset:3192
	v_add_co_u32_e32 v64, vcc, 0x1000, v64
	v_add_u32_e32 v71, 0x500, v82
	s_nop 0
	v_addc_co_u32_e32 v65, vcc, 0, v65, vcc
	global_load_dwordx2 v[74:75], v[64:65], off offset:776
	ds_read2_b64 v[64:67], v71 offset0:29 offset1:239
	ds_read_b64 v[76:77], v82 offset:4872
	s_waitcnt vmcnt(2) lgkmcnt(1)
	v_mul_f32_e32 v78, v65, v69
	v_mul_f32_e32 v79, v64, v69
	s_waitcnt vmcnt(1)
	v_mul_f32_e32 v80, v67, v73
	v_mul_f32_e32 v69, v66, v73
	v_fma_f32 v78, v64, v68, -v78
	v_fmac_f32_e32 v79, v65, v68
	v_fma_f32 v68, v66, v72, -v80
	s_waitcnt vmcnt(0) lgkmcnt(0)
	v_mul_f32_e32 v64, v77, v75
	v_mul_f32_e32 v65, v76, v75
	v_fmac_f32_e32 v69, v67, v72
	v_fma_f32 v64, v76, v74, -v64
	v_fmac_f32_e32 v65, v77, v74
	ds_write2_b64 v71, v[78:79], v[68:69] offset0:29 offset1:239
	ds_write_b64 v82, v[64:65] offset:4872
.LBB0_17:
	s_or_b64 exec, exec, s[0:1]
	s_waitcnt lgkmcnt(0)
	; wave barrier
	s_waitcnt lgkmcnt(0)
	ds_read2_b64 v[74:77], v82 offset1:63
	ds_read2_b64 v[66:69], v82 offset0:126 offset1:210
	ds_read2_b64 v[78:81], v70 offset0:164 offset1:227
	;; [unrolled: 1-line block ×3, first 2 shown]
	ds_read_b64 v[124:125], v82 offset:4368
	s_and_saveexec_b64 s[0:1], s[8:9]
	s_cbranch_execz .LBB0_19
; %bb.18:
	v_add_u32_e32 v56, 0x500, v82
	ds_read2_b64 v[60:63], v56 offset0:29 offset1:239
	ds_read_b64 v[56:57], v82 offset:4872
.LBB0_19:
	s_or_b64 exec, exec, s[0:1]
	s_waitcnt lgkmcnt(0)
	v_pk_add_f32 v[122:123], v[62:63], v[56:57]
	v_pk_add_f32 v[64:65], v[62:63], v[60:61]
	v_pk_fma_f32 v[60:61], v[122:123], 0.5, v[60:61] op_sel_hi:[1,0,1] neg_lo:[1,0,0] neg_hi:[1,0,0]
	v_pk_add_f32 v[62:63], v[62:63], v[56:57] neg_lo:[0,1] neg_hi:[0,1]
	s_mov_b32 s0, 0x3f5db3d7
	v_pk_add_f32 v[128:129], v[74:75], v[68:69]
	v_pk_add_f32 v[64:65], v[56:57], v[64:65]
	v_pk_fma_f32 v[56:57], v[62:63], s[0:1], v[60:61] op_sel:[0,0,1] op_sel_hi:[1,0,0]
	v_pk_fma_f32 v[122:123], v[62:63], s[0:1], v[60:61] op_sel:[0,0,1] op_sel_hi:[1,0,0] neg_lo:[1,0,0] neg_hi:[1,0,0]
	v_pk_add_f32 v[62:63], v[68:69], v[78:79]
	v_pk_add_f32 v[68:69], v[68:69], v[78:79] neg_lo:[0,1] neg_hi:[0,1]
	v_pk_fma_f32 v[62:63], v[62:63], 0.5, v[74:75] op_sel_hi:[1,0,1] neg_lo:[1,0,0] neg_hi:[1,0,0]
	v_pk_mul_f32 v[68:69], v[68:69], s[0:1] op_sel_hi:[1,0]
	v_pk_add_f32 v[60:61], v[128:129], v[78:79]
	v_pk_add_f32 v[74:75], v[62:63], v[68:69] op_sel:[0,1] op_sel_hi:[1,0] neg_lo:[0,1] neg_hi:[0,1]
	v_pk_add_f32 v[62:63], v[62:63], v[68:69] op_sel:[0,1] op_sel_hi:[1,0]
	v_mov_b32_e32 v68, v74
	v_mov_b32_e32 v69, v63
	;; [unrolled: 1-line block ×3, first 2 shown]
	s_waitcnt lgkmcnt(0)
	; wave barrier
	ds_write2_b64 v89, v[60:61], v[68:69] offset1:1
	ds_write_b64 v89, v[62:63] offset:16
	v_pk_add_f32 v[62:63], v[70:71], v[80:81]
	v_pk_add_f32 v[68:69], v[70:71], v[80:81] neg_lo:[0,1] neg_hi:[0,1]
	v_pk_fma_f32 v[62:63], v[62:63], 0.5, v[76:77] op_sel_hi:[1,0,1] neg_lo:[1,0,0] neg_hi:[1,0,0]
	v_pk_mul_f32 v[68:69], v[68:69], s[0:1] op_sel_hi:[1,0]
	v_pk_add_f32 v[130:131], v[76:77], v[70:71]
	v_pk_add_f32 v[70:71], v[62:63], v[68:69] op_sel:[0,1] op_sel_hi:[1,0] neg_lo:[0,1] neg_hi:[0,1]
	v_pk_add_f32 v[62:63], v[62:63], v[68:69] op_sel:[0,1] op_sel_hi:[1,0]
	v_pk_add_f32 v[132:133], v[66:67], v[72:73]
	v_mov_b32_e32 v69, v63
	v_mov_b32_e32 v63, v71
	ds_write_b64 v99, v[62:63] offset:16
	v_pk_add_f32 v[62:63], v[72:73], v[124:125]
	v_pk_add_f32 v[60:61], v[130:131], v[80:81]
	v_pk_fma_f32 v[62:63], v[62:63], 0.5, v[66:67] op_sel_hi:[1,0,1] neg_lo:[1,0,0] neg_hi:[1,0,0]
	v_pk_add_f32 v[66:67], v[72:73], v[124:125] neg_lo:[0,1] neg_hi:[0,1]
	v_mov_b32_e32 v68, v70
	v_pk_mul_f32 v[66:67], v[66:67], s[0:1] op_sel_hi:[1,0]
	ds_write2_b64 v99, v[60:61], v[68:69] offset1:1
	v_pk_add_f32 v[68:69], v[62:63], v[66:67] op_sel:[0,1] op_sel_hi:[1,0] neg_lo:[0,1] neg_hi:[0,1]
	v_pk_add_f32 v[62:63], v[62:63], v[66:67] op_sel:[0,1] op_sel_hi:[1,0]
	v_pk_add_f32 v[60:61], v[132:133], v[124:125]
	v_mov_b32_e32 v66, v68
	v_mov_b32_e32 v67, v63
	;; [unrolled: 1-line block ×3, first 2 shown]
	ds_write2_b64 v126, v[60:61], v[66:67] offset1:1
	ds_write_b64 v126, v[62:63] offset:16
	s_and_saveexec_b64 s[0:1], s[8:9]
	s_cbranch_execz .LBB0_21
; %bb.20:
	v_lshlrev_b32_e32 v62, 3, v127
	v_mov_b32_e32 v60, v123
	v_mov_b32_e32 v61, v56
	ds_write2_b64 v62, v[64:65], v[60:61] offset1:1
	v_mov_b32_e32 v60, v57
	v_mov_b32_e32 v61, v122
	ds_write_b64 v62, v[60:61] offset:16
.LBB0_21:
	s_or_b64 exec, exec, s[0:1]
	v_add_u32_e32 v66, 0x800, v82
	s_waitcnt lgkmcnt(0)
	; wave barrier
	s_waitcnt lgkmcnt(0)
	ds_read2_b64 v[72:75], v82 offset1:63
	ds_read2_b64 v[60:63], v82 offset0:126 offset1:210
	ds_read2_b64 v[76:79], v66 offset0:164 offset1:227
	ds_read2_b64 v[68:71], v66 offset0:17 offset1:80
	ds_read_b64 v[128:129], v82 offset:4368
	s_and_saveexec_b64 s[0:1], s[2:3]
	s_xor_b64 s[0:1], exec, s[0:1]
	s_or_saveexec_b64 s[0:1], s[0:1]
	v_mov_b32_e32 v148, v4
	v_mov_b32_e32 v149, v4
	;; [unrolled: 1-line block ×18, first 2 shown]
	s_xor_b64 exec, exec, s[0:1]
	s_cbranch_execz .LBB0_23
; %bb.22:
	v_add_u32_e32 v56, 0x500, v82
	ds_read_b64 v[80:81], v82 offset:4872
	ds_read2_b64 v[64:67], v56 offset0:29 offset1:239
	s_waitcnt lgkmcnt(1)
	v_mov_b32_e32 v57, v80
	v_mov_b32_e32 v122, v81
	s_waitcnt lgkmcnt(0)
	v_mov_b32_e32 v56, v67
	v_mov_b32_e32 v123, v66
.LBB0_23:
	s_or_b64 exec, exec, s[0:1]
	s_waitcnt lgkmcnt(1)
	v_pk_mul_f32 v[160:161], v[0:1], v[68:69]
	v_pk_mul_f32 v[0:1], v[8:9], v[56:57] op_sel_hi:[1,0]
	v_pk_mul_f32 v[158:159], v[4:5], v[62:63]
	v_pk_mul_f32 v[162:163], v[2:3], v[78:79]
	v_pk_mul_f32 v[2:3], v[10:11], v[122:123] op_sel_hi:[1,0]
	v_pk_fma_f32 v[4:5], v[8:9], v[122:123], v[0:1] op_sel:[0,0,1] op_sel_hi:[1,1,0] neg_lo:[1,0,0] neg_hi:[1,0,0]
	v_pk_fma_f32 v[0:1], v[8:9], v[122:123], v[0:1] op_sel:[0,1,1] op_sel_hi:[1,1,0]
	v_pk_fma_f32 v[8:9], v[10:11], v[56:57], v[2:3] op_sel:[0,0,1] op_sel_hi:[1,1,0] neg_lo:[1,0,0] neg_hi:[1,0,0]
	v_mov_b32_e32 v1, v5
	v_pk_fma_f32 v[4:5], v[10:11], v[56:57], v[2:3] op_sel:[0,1,1] op_sel_hi:[1,1,0]
	s_mov_b32 s0, 0x3f5db3d7
	v_mov_b32_e32 v5, v9
	v_pk_add_f32 v[2:3], v[0:1], v[4:5]
	v_pk_add_f32 v[8:9], v[0:1], v[4:5] neg_lo:[0,1] neg_hi:[0,1]
	v_pk_fma_f32 v[2:3], v[2:3], 0.5, v[64:65] op_sel_hi:[1,0,1] neg_lo:[1,0,0] neg_hi:[1,0,0]
	v_pk_mul_f32 v[8:9], v[8:9], s[0:1] op_sel_hi:[1,0]
	v_pk_mul_f32 v[6:7], v[6:7], v[76:77]
	v_pk_add_f32 v[56:57], v[2:3], v[8:9] op_sel:[0,1] op_sel_hi:[1,0]
	v_pk_add_f32 v[8:9], v[2:3], v[8:9] op_sel:[0,1] op_sel_hi:[1,0] neg_lo:[0,1] neg_hi:[0,1]
	v_mov_b32_e32 v3, v57
	v_mov_b32_e32 v2, v8
	;; [unrolled: 1-line block ×3, first 2 shown]
	v_pk_fma_f32 v[8:9], v[148:149], v[62:63], v[158:159] op_sel:[0,0,1] op_sel_hi:[1,1,0]
	v_pk_fma_f32 v[10:11], v[148:149], v[62:63], v[158:159] op_sel:[0,0,1] op_sel_hi:[1,1,0] neg_lo:[0,0,1] neg_hi:[0,0,1]
	s_waitcnt lgkmcnt(0)
	v_mov_b32_e32 v9, v11
	v_pk_fma_f32 v[10:11], v[146:147], v[76:77], v[6:7] op_sel:[0,0,1] op_sel_hi:[1,1,0]
	v_pk_fma_f32 v[6:7], v[146:147], v[76:77], v[6:7] op_sel:[0,0,1] op_sel_hi:[1,1,0] neg_lo:[0,0,1] neg_hi:[0,0,1]
	; wave barrier
	s_nop 0
	v_mov_b32_e32 v11, v7
	v_pk_add_f32 v[6:7], v[72:73], v[8:9]
	v_pk_add_f32 v[62:63], v[8:9], v[10:11]
	v_pk_add_f32 v[8:9], v[8:9], v[10:11] neg_lo:[0,1] neg_hi:[0,1]
	v_pk_fma_f32 v[62:63], v[62:63], 0.5, v[72:73] op_sel_hi:[1,0,1] neg_lo:[1,0,0] neg_hi:[1,0,0]
	v_pk_mul_f32 v[8:9], v[8:9], s[0:1] op_sel_hi:[1,0]
	v_pk_add_f32 v[6:7], v[6:7], v[10:11]
	v_pk_add_f32 v[10:11], v[62:63], v[8:9] op_sel:[0,1] op_sel_hi:[1,0] neg_lo:[0,1] neg_hi:[0,1]
	v_pk_add_f32 v[8:9], v[62:63], v[8:9] op_sel:[0,1] op_sel_hi:[1,0]
	v_mov_b32_e32 v62, v10
	v_mov_b32_e32 v63, v9
	;; [unrolled: 1-line block ×3, first 2 shown]
	ds_write2_b64 v152, v[6:7], v[62:63] offset1:3
	ds_write_b64 v152, v[8:9] offset:48
	v_pk_fma_f32 v[6:7], v[144:145], v[68:69], v[160:161] op_sel:[0,0,1] op_sel_hi:[1,1,0]
	v_pk_fma_f32 v[8:9], v[144:145], v[68:69], v[160:161] op_sel:[0,0,1] op_sel_hi:[1,1,0] neg_lo:[0,0,1] neg_hi:[0,0,1]
	v_pk_fma_f32 v[10:11], v[142:143], v[78:79], v[162:163] op_sel:[0,0,1] op_sel_hi:[1,1,0] neg_lo:[0,0,1] neg_hi:[0,0,1]
	v_mov_b32_e32 v7, v9
	v_pk_fma_f32 v[8:9], v[142:143], v[78:79], v[162:163] op_sel:[0,0,1] op_sel_hi:[1,1,0]
	v_pk_mul_f32 v[28:29], v[28:29], v[70:71]
	v_mov_b32_e32 v9, v11
	v_pk_add_f32 v[10:11], v[74:75], v[6:7]
	v_pk_add_f32 v[62:63], v[6:7], v[8:9]
	v_pk_add_f32 v[6:7], v[6:7], v[8:9] neg_lo:[0,1] neg_hi:[0,1]
	v_pk_fma_f32 v[62:63], v[62:63], 0.5, v[74:75] op_sel_hi:[1,0,1] neg_lo:[1,0,0] neg_hi:[1,0,0]
	v_pk_mul_f32 v[6:7], v[6:7], s[0:1] op_sel_hi:[1,0]
	v_pk_add_f32 v[10:11], v[10:11], v[8:9]
	v_pk_add_f32 v[8:9], v[62:63], v[6:7] op_sel:[0,1] op_sel_hi:[1,0] neg_lo:[0,1] neg_hi:[0,1]
	v_pk_add_f32 v[6:7], v[62:63], v[6:7] op_sel:[0,1] op_sel_hi:[1,0]
	v_pk_mul_f32 v[30:31], v[30:31], v[128:129]
	v_mov_b32_e32 v63, v7
	v_mov_b32_e32 v7, v9
	v_mov_b32_e32 v62, v8
	ds_write_b64 v151, v[6:7] offset:48
	v_pk_fma_f32 v[6:7], v[140:141], v[70:71], v[28:29] op_sel:[0,0,1] op_sel_hi:[1,1,0]
	v_pk_fma_f32 v[8:9], v[140:141], v[70:71], v[28:29] op_sel:[0,0,1] op_sel_hi:[1,1,0] neg_lo:[0,0,1] neg_hi:[0,0,1]
	ds_write2_b64 v151, v[10:11], v[62:63] offset1:3
	v_mov_b32_e32 v7, v9
	v_pk_fma_f32 v[8:9], v[138:139], v[128:129], v[30:31] op_sel:[0,0,1] op_sel_hi:[1,1,0]
	v_pk_fma_f32 v[10:11], v[138:139], v[128:129], v[30:31] op_sel:[0,0,1] op_sel_hi:[1,1,0] neg_lo:[0,0,1] neg_hi:[0,0,1]
	v_mov_b32_e32 v136, v40
	v_mov_b32_e32 v9, v11
	v_pk_add_f32 v[10:11], v[60:61], v[6:7]
	v_pk_add_f32 v[28:29], v[6:7], v[8:9]
	v_pk_add_f32 v[6:7], v[6:7], v[8:9] neg_lo:[0,1] neg_hi:[0,1]
	v_pk_fma_f32 v[28:29], v[28:29], 0.5, v[60:61] op_sel_hi:[1,0,1] neg_lo:[1,0,0] neg_hi:[1,0,0]
	v_pk_mul_f32 v[6:7], v[6:7], s[0:1] op_sel_hi:[1,0]
	v_pk_add_f32 v[10:11], v[10:11], v[8:9]
	v_pk_add_f32 v[8:9], v[28:29], v[6:7] op_sel:[0,1] op_sel_hi:[1,0] neg_lo:[0,1] neg_hi:[0,1]
	v_pk_add_f32 v[6:7], v[28:29], v[6:7] op_sel:[0,1] op_sel_hi:[1,0]
	v_mov_b32_e32 v137, v40
	v_mov_b32_e32 v40, v41
	;; [unrolled: 1-line block ×26, first 2 shown]
	ds_write2_b64 v153, v[10:11], v[28:29] offset1:3
	ds_write_b64 v153, v[6:7] offset:48
	s_and_saveexec_b64 s[0:1], s[8:9]
	s_cbranch_execz .LBB0_25
; %bb.24:
	v_pk_add_f32 v[0:1], v[0:1], v[64:65]
	v_add_lshl_u32 v6, v155, v83, 3
	v_pk_add_f32 v[0:1], v[0:1], v[4:5]
	ds_write2_b64 v6, v[0:1], v[2:3] offset1:3
	ds_write_b64 v6, v[56:57] offset:48
.LBB0_25:
	s_or_b64 exec, exec, s[0:1]
	s_waitcnt lgkmcnt(0)
	; wave barrier
	s_waitcnt lgkmcnt(0)
	ds_read2_b64 v[8:11], v82 offset1:63
	ds_read2_b64 v[28:31], v82 offset0:126 offset1:189
	v_add_u32_e32 v78, 0x400, v82
	ds_read2_b64 v[60:63], v78 offset0:124 offset1:187
	v_add_u32_e32 v79, 0x800, v82
	;; [unrolled: 2-line block ×3, first 2 shown]
	ds_read2_b64 v[72:75], v0 offset0:120 offset1:183
	s_waitcnt lgkmcnt(3)
	v_pk_mul_f32 v[0:1], v[40:41], v[30:31]
	s_mov_b32 s0, 0x3f737871
	v_pk_fma_f32 v[40:41], v[136:137], v[30:31], v[0:1] op_sel:[0,0,1] op_sel_hi:[1,1,0]
	v_pk_fma_f32 v[0:1], v[136:137], v[30:31], v[0:1] op_sel:[0,0,1] op_sel_hi:[1,1,0] neg_lo:[0,0,1] neg_hi:[0,0,1]
	s_mov_b32 s2, 0x3f167918
	v_mov_b32_e32 v41, v1
	s_waitcnt lgkmcnt(2)
	v_pk_mul_f32 v[0:1], v[42:43], v[62:63]
	v_pk_mul_f32 v[32:33], v[32:33], v[28:29]
	v_pk_fma_f32 v[30:31], v[134:135], v[62:63], v[0:1] op_sel:[0,0,1] op_sel_hi:[1,1,0]
	v_pk_fma_f32 v[0:1], v[134:135], v[62:63], v[0:1] op_sel:[0,0,1] op_sel_hi:[1,1,0] neg_lo:[0,0,1] neg_hi:[0,0,1]
	s_waitcnt lgkmcnt(1)
	v_pk_mul_f32 v[24:25], v[24:25], v[68:69]
	v_mov_b32_e32 v31, v1
	v_pk_mul_f32 v[0:1], v[36:37], v[70:71]
	v_pk_add_f32 v[64:65], v[40:41], v[30:31] neg_lo:[0,1] neg_hi:[0,1]
	v_pk_fma_f32 v[36:37], v[132:133], v[70:71], v[0:1] op_sel:[0,0,1] op_sel_hi:[1,1,0]
	v_pk_fma_f32 v[0:1], v[132:133], v[70:71], v[0:1] op_sel:[0,0,1] op_sel_hi:[1,1,0] neg_lo:[0,0,1] neg_hi:[0,0,1]
	s_mov_b32 s16, 0x3e9e377a
	v_mov_b32_e32 v37, v1
	s_waitcnt lgkmcnt(0)
	v_pk_mul_f32 v[0:1], v[38:39], v[74:75]
	v_pk_add_f32 v[6:7], v[30:31], v[36:37] neg_lo:[0,1] neg_hi:[0,1]
	v_pk_fma_f32 v[38:39], v[130:131], v[74:75], v[0:1] op_sel:[0,0,1] op_sel_hi:[1,1,0]
	v_pk_fma_f32 v[0:1], v[130:131], v[74:75], v[0:1] op_sel:[0,0,1] op_sel_hi:[1,1,0] neg_lo:[0,0,1] neg_hi:[0,0,1]
	s_nop 0
	v_mov_b32_e32 v39, v1
	v_pk_add_f32 v[0:1], v[40:41], v[38:39]
	v_pk_add_f32 v[62:63], v[36:37], v[38:39] neg_lo:[0,1] neg_hi:[0,1]
	v_pk_fma_f32 v[42:43], v[0:1], 0.5, v[10:11] op_sel_hi:[1,0,1] neg_lo:[1,0,0] neg_hi:[1,0,0]
	v_pk_add_f32 v[0:1], v[30:31], v[40:41] neg_lo:[0,1] neg_hi:[0,1]
	v_pk_add_f32 v[4:5], v[40:41], v[38:39] neg_lo:[0,1] neg_hi:[0,1]
	v_pk_add_f32 v[62:63], v[0:1], v[62:63]
	v_pk_add_f32 v[0:1], v[30:31], v[36:37]
	v_pk_add_f32 v[70:71], v[38:39], v[36:37] neg_lo:[0,1] neg_hi:[0,1]
	v_pk_fma_f32 v[0:1], v[0:1], 0.5, v[10:11] op_sel_hi:[1,0,1] neg_lo:[1,0,0] neg_hi:[1,0,0]
	v_pk_add_f32 v[64:65], v[64:65], v[70:71]
	v_pk_fma_f32 v[70:71], v[4:5], s[0:1], v[0:1] op_sel:[1,0,0] op_sel_hi:[0,0,1]
	v_pk_fma_f32 v[0:1], v[4:5], s[0:1], v[0:1] op_sel:[1,0,0] op_sel_hi:[0,0,1] neg_lo:[1,0,0] neg_hi:[1,0,0]
	v_pk_fma_f32 v[74:75], v[6:7], s[2:3], v[0:1] op_sel:[1,0,0] op_sel_hi:[0,0,1] neg_lo:[1,0,0] neg_hi:[1,0,0]
	v_pk_fma_f32 v[70:71], v[6:7], s[2:3], v[70:71] op_sel:[1,0,0] op_sel_hi:[0,0,1]
	v_pk_fma_f32 v[76:77], v[6:7], s[0:1], v[42:43] op_sel:[1,0,0] op_sel_hi:[0,0,1]
	v_pk_fma_f32 v[6:7], v[6:7], s[0:1], v[42:43] op_sel:[1,0,0] op_sel_hi:[0,0,1] neg_lo:[1,0,0] neg_hi:[1,0,0]
	v_pk_fma_f32 v[6:7], v[4:5], s[2:3], v[6:7] op_sel:[1,0,0] op_sel_hi:[0,0,1]
	v_pk_fma_f32 v[42:43], v[4:5], s[2:3], v[76:77] op_sel:[1,0,0] op_sel_hi:[0,0,1] neg_lo:[1,0,0] neg_hi:[1,0,0]
	v_mov_b32_e32 v4, v42
	v_mov_b32_e32 v5, v7
	;; [unrolled: 1-line block ×3, first 2 shown]
	v_pk_fma_f32 v[42:43], v[126:127], v[28:29], v[32:33] op_sel:[0,0,1] op_sel_hi:[1,1,0]
	v_pk_fma_f32 v[28:29], v[126:127], v[28:29], v[32:33] op_sel:[0,0,1] op_sel_hi:[1,1,0] neg_lo:[0,0,1] neg_hi:[0,0,1]
	v_pk_fma_f32 v[4:5], v[62:63], s[16:17], v[4:5] op_sel_hi:[1,0,1]
	v_mov_b32_e32 v43, v29
	v_pk_mul_f32 v[28:29], v[34:35], v[60:61]
	v_pk_fma_f32 v[6:7], v[62:63], s[16:17], v[6:7] op_sel_hi:[1,0,1]
	v_pk_fma_f32 v[32:33], v[124:125], v[60:61], v[28:29] op_sel:[0,0,1] op_sel_hi:[1,1,0]
	v_pk_fma_f32 v[28:29], v[124:125], v[60:61], v[28:29] op_sel:[0,0,1] op_sel_hi:[1,1,0] neg_lo:[0,0,1] neg_hi:[0,0,1]
	; wave barrier
	s_nop 0
	v_mov_b32_e32 v33, v29
	v_pk_fma_f32 v[28:29], v[80:81], v[68:69], v[24:25] op_sel:[0,0,1] op_sel_hi:[1,1,0]
	v_pk_fma_f32 v[24:25], v[80:81], v[68:69], v[24:25] op_sel:[0,0,1] op_sel_hi:[1,1,0] neg_lo:[0,0,1] neg_hi:[0,0,1]
	v_mov_b32_e32 v1, v75
	v_mov_b32_e32 v29, v25
	v_pk_mul_f32 v[24:25], v[26:27], v[72:73]
	v_pk_add_f32 v[34:35], v[32:33], v[28:29]
	v_pk_fma_f32 v[26:27], v[66:67], v[72:73], v[24:25] op_sel:[0,0,1] op_sel_hi:[1,1,0]
	v_pk_fma_f32 v[24:25], v[66:67], v[72:73], v[24:25] op_sel:[0,0,1] op_sel_hi:[1,1,0] neg_lo:[0,0,1] neg_hi:[0,0,1]
	v_pk_fma_f32 v[34:35], v[34:35], 0.5, v[8:9] op_sel_hi:[1,0,1] neg_lo:[1,0,0] neg_hi:[1,0,0]
	v_mov_b32_e32 v27, v25
	v_pk_add_f32 v[60:61], v[42:43], v[26:27] neg_lo:[0,1] neg_hi:[0,1]
	v_pk_add_f32 v[66:67], v[32:33], v[28:29] neg_lo:[0,1] neg_hi:[0,1]
	v_pk_mul_f32 v[62:63], v[60:61], s[0:1] op_sel_hi:[1,0]
	v_pk_add_f32 v[72:73], v[42:43], v[32:33] neg_lo:[0,1] neg_hi:[0,1]
	v_pk_add_f32 v[76:77], v[26:27], v[28:29] neg_lo:[0,1] neg_hi:[0,1]
	v_pk_add_f32 v[24:25], v[8:9], v[42:43]
	v_pk_mul_f32 v[68:69], v[66:67], s[2:3] op_sel_hi:[1,0]
	v_pk_add_f32 v[72:73], v[72:73], v[76:77]
	v_pk_add_f32 v[76:77], v[34:35], v[62:63] op_sel:[0,1] op_sel_hi:[1,0] neg_lo:[0,1] neg_hi:[0,1]
	v_pk_add_f32 v[34:35], v[34:35], v[62:63] op_sel:[0,1] op_sel_hi:[1,0]
	v_pk_add_f32 v[24:25], v[24:25], v[32:33]
	v_pk_add_f32 v[34:35], v[34:35], v[68:69] op_sel:[0,1] op_sel_hi:[1,0]
	v_pk_add_f32 v[62:63], v[76:77], v[68:69] op_sel:[0,1] op_sel_hi:[1,0] neg_lo:[0,1] neg_hi:[0,1]
	v_pk_add_f32 v[24:25], v[24:25], v[28:29]
	v_mov_b32_e32 v68, v62
	v_mov_b32_e32 v69, v35
	v_pk_add_f32 v[24:25], v[24:25], v[26:27]
	v_pk_fma_f32 v[68:69], v[72:73], s[16:17], v[68:69] op_sel_hi:[1,0,1]
	ds_write2_b64 v154, v[24:25], v[68:69] offset1:9
	v_pk_add_f32 v[24:25], v[42:43], v[26:27]
	v_pk_add_f32 v[26:27], v[28:29], v[26:27] neg_lo:[0,1] neg_hi:[0,1]
	v_pk_fma_f32 v[8:9], v[24:25], 0.5, v[8:9] op_sel_hi:[1,0,1] neg_lo:[1,0,0] neg_hi:[1,0,0]
	v_pk_add_f32 v[24:25], v[32:33], v[42:43] neg_lo:[0,1] neg_hi:[0,1]
	v_pk_mul_f32 v[28:29], v[60:61], s[2:3] op_sel_hi:[1,0]
	v_pk_add_f32 v[24:25], v[24:25], v[26:27]
	v_pk_mul_f32 v[26:27], v[66:67], s[0:1] op_sel_hi:[1,0]
	v_mov_b32_e32 v35, v63
	v_pk_add_f32 v[32:33], v[8:9], v[26:27] op_sel:[0,1] op_sel_hi:[1,0]
	v_pk_add_f32 v[8:9], v[8:9], v[26:27] op_sel:[0,1] op_sel_hi:[1,0] neg_lo:[0,1] neg_hi:[0,1]
	v_pk_add_f32 v[26:27], v[32:33], v[28:29] op_sel:[0,1] op_sel_hi:[1,0] neg_lo:[0,1] neg_hi:[0,1]
	v_pk_add_f32 v[8:9], v[8:9], v[28:29] op_sel:[0,1] op_sel_hi:[1,0]
	v_mov_b32_e32 v28, v26
	v_mov_b32_e32 v29, v9
	;; [unrolled: 1-line block ×3, first 2 shown]
	v_pk_fma_f32 v[28:29], v[24:25], s[16:17], v[28:29] op_sel_hi:[1,0,1]
	v_pk_fma_f32 v[8:9], v[24:25], s[16:17], v[8:9] op_sel_hi:[1,0,1]
	ds_write2_b64 v154, v[28:29], v[8:9] offset0:18 offset1:27
	v_pk_fma_f32 v[8:9], v[72:73], s[16:17], v[34:35] op_sel_hi:[1,0,1]
	ds_write_b64 v154, v[8:9] offset:288
	v_pk_add_f32 v[8:9], v[10:11], v[40:41]
	v_mov_b32_e32 v75, v71
	v_pk_add_f32 v[8:9], v[8:9], v[30:31]
	v_mov_b32_e32 v0, v70
	v_pk_add_f32 v[8:9], v[8:9], v[36:37]
	v_pk_fma_f32 v[10:11], v[64:65], s[16:17], v[74:75] op_sel_hi:[1,0,1]
	v_pk_add_f32 v[8:9], v[8:9], v[38:39]
	v_pk_fma_f32 v[0:1], v[64:65], s[16:17], v[0:1] op_sel_hi:[1,0,1]
	ds_write2_b64 v156, v[8:9], v[10:11] offset1:9
	ds_write2_b64 v156, v[4:5], v[6:7] offset0:18 offset1:27
	ds_write_b64 v156, v[0:1] offset:288
	s_waitcnt lgkmcnt(0)
	; wave barrier
	s_waitcnt lgkmcnt(0)
	ds_read2_b64 v[8:11], v82 offset1:90
	ds_read2_b64 v[28:31], v78 offset0:52 offset1:142
	ds_read2_b64 v[24:27], v79 offset0:104 offset1:194
	ds_read_b64 v[42:43], v82 offset:4320
	s_and_saveexec_b64 s[0:1], s[6:7]
	s_xor_b64 s[0:1], exec, s[0:1]
	s_andn2_saveexec_b64 s[0:1], s[0:1]
	s_cbranch_execz .LBB0_27
; %bb.26:
	v_add_u32_e32 v0, 0xc00, v82
	ds_read2_b64 v[4:7], v82 offset0:63 offset1:153
	ds_read2_b64 v[56:59], v0 offset0:39 offset1:129
	ds_read_b64 v[32:33], v82 offset:4824
	v_add_u32_e32 v0, 0x400, v82
	ds_read2_b64 v[0:3], v0 offset0:115 offset1:205
	s_waitcnt lgkmcnt(2)
	v_mov_b32_e32 v110, v59
	s_waitcnt lgkmcnt(1)
	v_mov_b32_e32 v111, v33
	v_mov_b32_e32 v59, v32
.LBB0_27:
	s_or_b64 exec, exec, s[0:1]
	s_waitcnt lgkmcnt(2)
	v_pk_mul_f32 v[72:73], v[52:53], v[30:31] op_sel:[0,1] op_sel_hi:[1,0]
	v_pk_mul_f32 v[60:61], v[48:49], v[10:11] op_sel_hi:[1,0]
	v_mov_b32_e32 v62, v11
	v_mov_b32_e32 v70, v53
	;; [unrolled: 1-line block ×3, first 2 shown]
	s_waitcnt lgkmcnt(1)
	v_pk_mul_f32 v[74:75], v[54:55], v[24:25] op_sel:[0,1] op_sel_hi:[1,0]
	v_pk_mul_f32 v[64:65], v[50:51], v[28:29] op_sel_hi:[1,0]
	v_mov_b32_e32 v66, v29
	v_pk_mul_f32 v[68:69], v[52:53], v[30:31]
	v_pk_mul_f32 v[70:71], v[70:71], v[30:31] op_sel:[0,1] op_sel_hi:[1,0]
	v_pk_fma_f32 v[30:31], v[52:53], v[30:31], v[72:73] op_sel:[0,1,0] op_sel_hi:[1,0,1] neg_lo:[0,0,1] neg_hi:[0,0,1]
	v_mov_b32_e32 v72, v55
	v_mov_b32_e32 v74, v75
	v_pk_fma_f32 v[62:63], v[48:49], v[62:63], v[60:61] op_sel:[0,0,1] op_sel_hi:[1,1,0] neg_lo:[0,0,1] neg_hi:[0,0,1]
	v_pk_fma_f32 v[10:11], v[48:49], v[10:11], v[60:61] op_sel:[0,1,1] op_sel_hi:[1,1,0]
	v_pk_mul_f32 v[52:53], v[54:55], v[24:25]
	v_pk_mul_f32 v[72:73], v[72:73], v[24:25] op_sel:[0,1] op_sel_hi:[1,0]
	v_pk_fma_f32 v[24:25], v[54:55], v[24:25], v[74:75] op_sel:[0,1,0] op_sel_hi:[1,0,1] neg_lo:[0,0,1] neg_hi:[0,0,1]
	v_pk_mul_f32 v[54:55], v[44:45], v[26:27] op_sel_hi:[1,0]
	v_mov_b32_e32 v74, v27
	v_mov_b32_e32 v63, v11
	v_pk_fma_f32 v[10:11], v[50:51], v[66:67], v[64:65] op_sel:[0,0,1] op_sel_hi:[1,1,0] neg_lo:[0,0,1] neg_hi:[0,0,1]
	v_pk_fma_f32 v[28:29], v[50:51], v[28:29], v[64:65] op_sel:[0,1,1] op_sel_hi:[1,1,0]
	s_waitcnt lgkmcnt(0)
	v_pk_mul_f32 v[76:77], v[46:47], v[42:43] op_sel_hi:[1,0]
	v_mov_b32_e32 v78, v43
	v_mov_b32_e32 v11, v29
	v_pk_fma_f32 v[28:29], v[44:45], v[74:75], v[54:55] op_sel:[0,0,1] op_sel_hi:[1,1,0] neg_lo:[0,0,1] neg_hi:[0,0,1]
	v_pk_fma_f32 v[26:27], v[44:45], v[26:27], v[54:55] op_sel:[0,1,1] op_sel_hi:[1,1,0]
	v_pk_fma_f32 v[42:43], v[46:47], v[42:43], v[76:77] op_sel:[0,1,1] op_sel_hi:[1,1,0]
	v_mov_b32_e32 v29, v27
	v_pk_fma_f32 v[26:27], v[46:47], v[78:79], v[76:77] op_sel:[0,0,1] op_sel_hi:[1,1,0] neg_lo:[0,0,1] neg_hi:[0,0,1]
	v_mov_b32_e32 v53, v62
	v_mov_b32_e32 v27, v43
	;; [unrolled: 1-line block ×5, first 2 shown]
	v_pk_add_f32 v[42:43], v[62:63], v[26:27]
	v_pk_add_f32 v[44:45], v[62:63], v[26:27] neg_lo:[0,1] neg_hi:[0,1]
	v_pk_add_f32 v[46:47], v[10:11], v[28:29]
	v_pk_add_f32 v[48:49], v[10:11], v[28:29] neg_lo:[0,1] neg_hi:[0,1]
	v_pk_add_f32 v[26:27], v[52:53], v[72:73]
	v_pk_add_f32 v[10:11], v[68:69], v[70:71]
	v_mov_b32_e32 v25, v26
	v_mov_b32_e32 v31, v10
	v_pk_add_f32 v[28:29], v[24:25], v[30:31] neg_lo:[0,1] neg_hi:[0,1]
	v_mov_b32_e32 v60, v47
	v_mov_b32_e32 v61, v30
	;; [unrolled: 1-line block ×4, first 2 shown]
	v_pk_add_f32 v[24:25], v[60:61], v[30:31]
	v_pk_add_f32 v[30:31], v[10:11], v[26:27]
	v_mov_b32_e32 v50, v28
	v_mov_b32_e32 v51, v45
	;; [unrolled: 1-line block ×4, first 2 shown]
	s_mov_b32 s2, 0x3f08b237
	v_mov_b32_e32 v26, v30
	v_mov_b32_e32 v61, v25
	s_mov_b32 s22, 0x3d64c772
	v_pk_add_f32 v[50:51], v[50:51], v[52:53] neg_lo:[0,1] neg_hi:[0,1]
	s_mov_b32 s3, 0xbeae86e6
	v_mov_b32_e32 v52, v44
	v_mov_b32_e32 v54, v28
	;; [unrolled: 1-line block ×3, first 2 shown]
	v_pk_add_f32 v[60:61], v[26:27], v[60:61] neg_lo:[0,1] neg_hi:[0,1]
	v_mov_b32_e32 v62, v43
	v_mov_b32_e32 v63, v25
	;; [unrolled: 1-line block ×3, first 2 shown]
	v_pk_add_f32 v[24:25], v[24:25], v[30:31]
	s_mov_b32 s23, 0x3f4a47b2
	v_pk_mul_f32 v[50:51], v[50:51], s[2:3]
	v_pk_add_f32 v[52:53], v[52:53], v[54:55] neg_lo:[0,1] neg_hi:[0,1]
	s_mov_b32 s18, s3
	s_mov_b32 s19, s2
	v_pk_add_f32 v[28:29], v[28:29], v[48:49]
	v_pk_add_f32 v[62:63], v[62:63], v[10:11] neg_lo:[0,1] neg_hi:[0,1]
	v_pk_add_f32 v[8:9], v[8:9], v[24:25]
	s_mov_b32 s20, 0xbf955555
	v_pk_mul_f32 v[30:31], v[60:61], s[22:23]
	s_mov_b32 s24, s23
	s_mov_b32 s25, s22
	v_pk_mul_f32 v[54:55], v[52:53], s[18:19]
	v_pk_add_f32 v[28:29], v[28:29], v[44:45]
	s_mov_b32 s0, 0xbee1c552
	v_pk_mul_f32 v[60:61], v[62:63], s[24:25]
	v_pk_fma_f32 v[24:25], v[24:25], s[20:21], v[8:9] op_sel_hi:[1,0,1]
	v_pk_fma_f32 v[62:63], v[62:63], s[24:25], v[30:31]
	v_pk_fma_f32 v[52:53], v[52:53], s[18:19], v[50:51]
	v_pk_add_f32 v[62:63], v[62:63], v[24:25]
	v_pk_fma_f32 v[52:53], v[28:29], s[0:1], v[52:53] op_sel_hi:[1,0,1]
	v_mov_b32_e32 v10, v47
	v_pk_add_f32 v[64:65], v[62:63], v[52:53]
	v_pk_add_f32 v[52:53], v[62:63], v[52:53] neg_lo:[0,1] neg_hi:[0,1]
	v_mov_b32_e32 v62, v64
	v_mov_b32_e32 v63, v53
	;; [unrolled: 1-line block ×3, first 2 shown]
	s_waitcnt lgkmcnt(0)
	; wave barrier
	ds_write2_b64 v157, v[8:9], v[62:63] offset1:45
	v_pk_add_f32 v[8:9], v[48:49], v[44:45] neg_lo:[0,1] neg_hi:[0,1]
	s_mov_b32 s6, 0xbf5ff5aa
	v_pk_add_f32 v[10:11], v[10:11], v[26:27] neg_lo:[0,1] neg_hi:[0,1]
	s_mov_b32 s16, 0x3f3bfb3b
	v_mov_b32_e32 v26, v60
	v_mov_b32_e32 v27, v31
	;; [unrolled: 1-line block ×6, first 2 shown]
	v_pk_fma_f32 v[26:27], v[10:11], s[16:17], v[26:27] op_sel_hi:[1,0,1] neg_lo:[1,0,1] neg_hi:[1,0,1]
	v_pk_fma_f32 v[42:43], v[8:9], s[6:7], v[42:43] op_sel_hi:[1,0,1] neg_lo:[1,0,1] neg_hi:[1,0,1]
	;; [unrolled: 1-line block ×4, first 2 shown]
	v_pk_add_f32 v[26:27], v[26:27], v[24:25]
	v_pk_fma_f32 v[42:43], v[28:29], s[0:1], v[42:43] op_sel_hi:[1,0,1]
	v_pk_add_f32 v[10:11], v[10:11], v[24:25]
	v_pk_fma_f32 v[8:9], v[28:29], s[0:1], v[8:9] op_sel_hi:[1,0,1]
	v_pk_add_f32 v[44:45], v[26:27], v[42:43]
	v_pk_add_f32 v[26:27], v[26:27], v[42:43] neg_lo:[0,1] neg_hi:[0,1]
	v_pk_add_f32 v[24:25], v[10:11], v[8:9] neg_lo:[0,1] neg_hi:[0,1]
	v_pk_add_f32 v[8:9], v[10:11], v[8:9]
	v_mov_b32_e32 v32, v114
	v_mov_b32_e32 v33, v114
	;; [unrolled: 1-line block ×22, first 2 shown]
	ds_write2_b64 v157, v[42:43], v[10:11] offset0:90 offset1:135
	ds_write2_b64 v157, v[8:9], v[26:27] offset0:180 offset1:225
	ds_write_b64 v157, v[52:53] offset:2160
	s_and_saveexec_b64 s[26:27], s[4:5]
	s_cbranch_execz .LBB0_29
; %bb.28:
	v_mov_b32_e32 v8, v21
	v_mov_b32_e32 v9, v20
	v_pk_mul_f32 v[44:45], v[8:9], v[2:3]
	v_pk_mul_f32 v[24:25], v[18:19], v[58:59] op_sel:[0,1]
	v_mov_b32_e32 v44, v45
	v_pk_mul_f32 v[10:11], v[12:13], v[6:7] op_sel_hi:[1,0]
	v_pk_mul_f32 v[20:21], v[20:21], v[2:3]
	v_mov_b32_e32 v28, v3
	v_pk_fma_f32 v[2:3], v[8:9], v[2:3], v[44:45] neg_lo:[1,0,0] neg_hi:[1,0,0]
	v_pk_fma_f32 v[44:45], v[18:19], v[110:111], v[24:25] op_sel:[0,1,1] op_sel_hi:[1,1,0] neg_lo:[0,0,1] neg_hi:[0,0,1]
	v_pk_fma_f32 v[18:19], v[18:19], v[110:111], v[24:25] op_sel:[0,1,1] op_sel_hi:[1,1,0]
	v_pk_mul_f32 v[42:43], v[16:17], v[58:59] op_sel_hi:[1,0]
	v_mov_b32_e32 v45, v19
	v_pk_fma_f32 v[18:19], v[12:13], v[6:7], v[10:11] op_sel:[0,1,1] op_sel_hi:[1,1,0] neg_lo:[0,0,1] neg_hi:[0,0,1]
	v_pk_fma_f32 v[6:7], v[12:13], v[6:7], v[10:11] op_sel:[0,1,1] op_sel_hi:[1,1,0]
	v_mov_b32_e32 v26, v57
	v_pk_mul_f32 v[30:31], v[14:15], v[0:1] op_sel_hi:[1,0]
	v_mov_b32_e32 v19, v7
	v_pk_fma_f32 v[6:7], v[16:17], v[110:111], v[42:43] op_sel:[0,0,1] op_sel_hi:[1,1,0] neg_lo:[0,0,1] neg_hi:[0,0,1]
	v_pk_fma_f32 v[10:11], v[16:17], v[110:111], v[42:43] op_sel:[0,0,1] op_sel_hi:[1,0,0]
	v_pk_mul_f32 v[22:23], v[22:23], v[56:57]
	v_pk_mul_f32 v[26:27], v[108:109], v[26:27]
	;; [unrolled: 1-line block ×4, first 2 shown]
	v_mov_b32_e32 v7, v11
	v_pk_fma_f32 v[10:11], v[14:15], v[0:1], v[30:31] op_sel:[0,1,1] op_sel_hi:[1,1,0] neg_lo:[0,0,1] neg_hi:[0,0,1]
	v_pk_fma_f32 v[0:1], v[14:15], v[0:1], v[30:31] op_sel:[0,1,1] op_sel_hi:[1,1,0]
	v_mov_b32_e32 v8, v9
	v_mov_b32_e32 v11, v1
	;; [unrolled: 1-line block ×6, first 2 shown]
	v_pk_fma_f32 v[8:9], v[108:109], v[56:57], v[8:9] neg_lo:[1,0,0] neg_hi:[1,0,0]
	v_mov_b32_e32 v3, 3
	v_pk_add_f32 v[0:1], v[44:45], v[18:19]
	v_pk_add_f32 v[12:13], v[6:7], v[10:11]
	v_pk_add_f32 v[14:15], v[18:19], v[44:45] neg_lo:[0,1] neg_hi:[0,1]
	v_pk_add_f32 v[16:17], v[10:11], v[6:7] neg_lo:[0,1] neg_hi:[0,1]
	v_pk_add_f32 v[18:19], v[22:23], v[26:27]
	v_pk_add_f32 v[6:7], v[20:21], v[28:29]
	v_lshlrev_b32_sdwa v46, v3, v150 dst_sel:DWORD dst_unused:UNUSED_PAD src0_sel:DWORD src1_sel:BYTE_0
	v_mov_b32_e32 v9, v18
	v_mov_b32_e32 v3, v6
	v_pk_add_f32 v[10:11], v[8:9], v[2:3] neg_lo:[0,1] neg_hi:[0,1]
	v_mov_b32_e32 v27, v15
	v_mov_b32_e32 v22, v10
	v_pk_add_f32 v[24:25], v[10:11], v[16:17]
	v_mov_b32_e32 v26, v10
	v_mov_b32_e32 v10, v16
	;; [unrolled: 1-line block ×3, first 2 shown]
	v_pk_add_f32 v[10:11], v[26:27], v[10:11] neg_lo:[0,1] neg_hi:[0,1]
	v_mov_b32_e32 v26, v13
	v_mov_b32_e32 v27, v2
	;; [unrolled: 1-line block ×4, first 2 shown]
	v_pk_add_f32 v[2:3], v[26:27], v[2:3]
	v_pk_add_f32 v[8:9], v[6:7], v[18:19]
	v_mov_b32_e32 v20, v14
	v_pk_add_f32 v[26:27], v[2:3], v[8:9]
	v_mov_b32_e32 v2, v1
	v_mov_b32_e32 v9, v7
	v_pk_add_f32 v[28:29], v[2:3], v[8:9] neg_lo:[0,1] neg_hi:[0,1]
	v_mov_b32_e32 v9, v19
	v_mov_b32_e32 v2, v13
	;; [unrolled: 1-line block ×3, first 2 shown]
	v_pk_add_f32 v[2:3], v[8:9], v[2:3] neg_lo:[0,1] neg_hi:[0,1]
	v_pk_add_f32 v[20:21], v[20:21], v[22:23] neg_lo:[0,1] neg_hi:[0,1]
	v_pk_mul_f32 v[10:11], v[10:11], s[2:3]
	v_pk_add_f32 v[4:5], v[4:5], v[26:27]
	v_pk_mul_f32 v[2:3], v[2:3], s[22:23]
	v_pk_mul_f32 v[22:23], v[20:21], s[18:19]
	v_pk_add_f32 v[24:25], v[24:25], v[14:15]
	v_pk_fma_f32 v[20:21], v[20:21], s[18:19], v[10:11]
	v_pk_fma_f32 v[8:9], v[28:29], s[24:25], v[2:3]
	v_pk_fma_f32 v[26:27], v[26:27], s[20:21], v[4:5] op_sel_hi:[1,0,1]
	v_pk_fma_f32 v[20:21], v[24:25], s[0:1], v[20:21] op_sel_hi:[1,0,1]
	v_pk_add_f32 v[8:9], v[8:9], v[26:27]
	v_pk_mul_f32 v[30:31], v[28:29], s[24:25]
	v_pk_add_f32 v[28:29], v[8:9], v[20:21]
	v_pk_add_f32 v[8:9], v[8:9], v[20:21] neg_lo:[0,1] neg_hi:[0,1]
	v_mov_b32_e32 v20, v28
	v_mov_b32_e32 v21, v9
	v_add_u32_e32 v9, 0x800, v46
	v_mov_b32_e32 v6, v13
	v_mov_b32_e32 v18, v1
	ds_write2_b64 v9, v[4:5], v[20:21] offset0:59 offset1:104
	v_pk_add_f32 v[4:5], v[16:17], v[14:15] neg_lo:[0,1] neg_hi:[0,1]
	v_mov_b32_e32 v14, v22
	v_mov_b32_e32 v15, v11
	v_pk_add_f32 v[0:1], v[6:7], v[18:19] neg_lo:[0,1] neg_hi:[0,1]
	v_mov_b32_e32 v6, v30
	v_mov_b32_e32 v7, v3
	;; [unrolled: 1-line block ×4, first 2 shown]
	v_pk_fma_f32 v[14:15], v[4:5], s[6:7], v[14:15] op_sel_hi:[1,0,1] neg_lo:[1,0,1] neg_hi:[1,0,1]
	v_pk_fma_f32 v[6:7], v[0:1], s[16:17], v[6:7] op_sel_hi:[1,0,1] neg_lo:[1,0,1] neg_hi:[1,0,1]
	;; [unrolled: 1-line block ×4, first 2 shown]
	v_pk_fma_f32 v[14:15], v[24:25], s[0:1], v[14:15] op_sel_hi:[1,0,1]
	v_pk_add_f32 v[6:7], v[6:7], v[26:27]
	v_pk_fma_f32 v[4:5], v[24:25], s[0:1], v[4:5] op_sel_hi:[1,0,1]
	v_pk_add_f32 v[0:1], v[0:1], v[26:27]
	v_pk_add_f32 v[12:13], v[6:7], v[14:15]
	v_pk_add_f32 v[6:7], v[6:7], v[14:15] neg_lo:[0,1] neg_hi:[0,1]
	v_pk_add_f32 v[2:3], v[0:1], v[4:5] neg_lo:[0,1] neg_hi:[0,1]
	v_pk_add_f32 v[0:1], v[0:1], v[4:5]
	v_mov_b32_e32 v14, v12
	v_mov_b32_e32 v15, v7
	;; [unrolled: 1-line block ×4, first 2 shown]
	ds_write2_b64 v9, v[14:15], v[4:5] offset0:149 offset1:194
	v_mov_b32_e32 v1, v3
	v_mov_b32_e32 v7, v13
	v_add_u32_e32 v2, 0xc00, v46
	v_mov_b32_e32 v9, v29
	ds_write2_b64 v2, v[0:1], v[6:7] offset0:111 offset1:156
	ds_write_b64 v46, v[8:9] offset:4680
.LBB0_29:
	s_or_b64 exec, exec, s[26:27]
	v_add_u32_e32 v0, 0x400, v82
	s_waitcnt lgkmcnt(0)
	; wave barrier
	s_waitcnt lgkmcnt(0)
	ds_read2_b64 v[0:3], v0 offset0:124 offset1:187
	v_add_u32_e32 v28, 0x800, v82
	ds_read2_b64 v[4:7], v82 offset1:63
	ds_read2_b64 v[8:11], v28 offset0:122 offset1:185
	v_add_u32_e32 v29, 0xc00, v82
	s_waitcnt lgkmcnt(2)
	v_pk_mul_f32 v[16:17], v[120:121], v[2:3]
	v_mad_u64_u32 v[14:15], s[0:1], s14, v98, 0
	v_pk_fma_f32 v[18:19], v[40:41], v[2:3], v[16:17] op_sel:[0,0,1] op_sel_hi:[1,1,0]
	v_pk_fma_f32 v[2:3], v[40:41], v[2:3], v[16:17] op_sel:[0,0,1] op_sel_hi:[1,1,0] neg_lo:[0,0,1] neg_hi:[0,0,1]
	s_waitcnt lgkmcnt(0)
	v_pk_mul_f32 v[24:25], v[116:117], v[10:11]
	v_mov_b32_e32 v19, v3
	v_pk_add_f32 v[16:17], v[4:5], v[18:19] neg_lo:[0,1] neg_hi:[0,1]
	v_pk_mul_f32 v[2:3], v[118:119], v[8:9]
	v_pk_fma_f32 v[18:19], v[4:5], 2.0, v[16:17] op_sel_hi:[1,0,1] neg_lo:[0,0,1] neg_hi:[0,0,1]
	v_pk_fma_f32 v[4:5], v[38:39], v[8:9], v[2:3] op_sel:[0,0,1] op_sel_hi:[1,1,0]
	v_pk_fma_f32 v[2:3], v[38:39], v[8:9], v[2:3] op_sel:[0,0,1] op_sel_hi:[1,1,0] neg_lo:[0,0,1] neg_hi:[0,0,1]
	v_pk_fma_f32 v[26:27], v[34:35], v[10:11], v[24:25] op_sel:[0,0,1] op_sel_hi:[1,1,0]
	v_mov_b32_e32 v5, v3
	v_pk_add_f32 v[20:21], v[6:7], v[4:5] neg_lo:[0,1] neg_hi:[0,1]
	ds_read2_b64 v[2:5], v82 offset0:126 offset1:189
	v_pk_fma_f32 v[22:23], v[6:7], 2.0, v[20:21] op_sel_hi:[1,0,1] neg_lo:[0,0,1] neg_hi:[0,0,1]
	ds_read2_b64 v[6:9], v29 offset0:120 offset1:183
	v_pk_fma_f32 v[10:11], v[34:35], v[10:11], v[24:25] op_sel:[0,0,1] op_sel_hi:[1,1,0] neg_lo:[0,0,1] neg_hi:[0,0,1]
	v_mov_b32_e32 v12, s10
	v_mov_b32_e32 v27, v11
	s_waitcnt lgkmcnt(1)
	v_pk_add_f32 v[10:11], v[2:3], v[26:27] neg_lo:[0,1] neg_hi:[0,1]
	s_waitcnt lgkmcnt(0)
	v_pk_mul_f32 v[24:25], v[112:113], v[6:7]
	v_pk_fma_f32 v[2:3], v[2:3], 2.0, v[10:11] op_sel_hi:[1,0,1] neg_lo:[0,0,1] neg_hi:[0,0,1]
	v_pk_fma_f32 v[26:27], v[36:37], v[6:7], v[24:25] op_sel:[0,0,1] op_sel_hi:[1,1,0]
	v_pk_fma_f32 v[6:7], v[36:37], v[6:7], v[24:25] op_sel:[0,0,1] op_sel_hi:[1,1,0] neg_lo:[0,0,1] neg_hi:[0,0,1]
	v_pk_mul_f32 v[24:25], v[114:115], v[8:9]
	v_mov_b32_e32 v27, v7
	v_pk_add_f32 v[6:7], v[4:5], v[26:27] neg_lo:[0,1] neg_hi:[0,1]
	v_pk_fma_f32 v[26:27], v[32:33], v[8:9], v[24:25] op_sel:[0,0,1] op_sel_hi:[1,1,0]
	v_pk_fma_f32 v[8:9], v[32:33], v[8:9], v[24:25] op_sel:[0,0,1] op_sel_hi:[1,1,0] neg_lo:[0,0,1] neg_hi:[0,0,1]
	v_pk_fma_f32 v[4:5], v[4:5], 2.0, v[6:7] op_sel_hi:[1,0,1] neg_lo:[0,0,1] neg_hi:[0,0,1]
	v_mov_b32_e32 v27, v9
	v_pk_add_f32 v[8:9], v[0:1], v[26:27] neg_lo:[0,1] neg_hi:[0,1]
	v_mov_b32_e32 v13, s11
	v_pk_fma_f32 v[0:1], v[0:1], 2.0, v[8:9] op_sel_hi:[1,0,1] neg_lo:[0,0,1] neg_hi:[0,0,1]
	ds_write2_b64 v28, v[16:17], v[20:21] offset0:59 offset1:122
	ds_write2_b64 v82, v[18:19], v[22:23] offset1:63
	ds_write_b64 v82, v[10:11] offset:3528
	ds_write2_b64 v82, v[2:3], v[4:5] offset0:126 offset1:189
	ds_write_b64 v82, v[0:1] offset:2016
	ds_write2_b64 v29, v[6:7], v[8:9] offset0:120 offset1:183
	s_waitcnt lgkmcnt(0)
	; wave barrier
	s_waitcnt lgkmcnt(0)
	ds_read2_b64 v[0:3], v82 offset1:63
	v_mov_b32_e32 v4, v15
	v_mad_u64_u32 v[4:5], s[0:1], s15, v98, v[4:5]
	v_mov_b32_e32 v15, v4
	s_waitcnt lgkmcnt(0)
	v_mul_f32_e32 v4, v107, v1
	v_fmac_f32_e32 v4, v106, v0
	v_mul_f32_e32 v0, v107, v0
	s_mov_b32 s0, 0x1a01a01a
	v_fma_f32 v0, v106, v1, -v0
	s_mov_b32 s1, 0x3f5a01a0
	v_cvt_f64_f32_e32 v[0:1], v0
	v_cvt_f64_f32_e32 v[4:5], v4
	v_mul_f64 v[0:1], v[0:1], s[0:1]
	v_mul_f64 v[4:5], v[4:5], s[0:1]
	v_cvt_f32_f64_e32 v9, v[0:1]
	v_mad_u64_u32 v[0:1], s[2:3], s12, v88, 0
	v_cvt_f32_f64_e32 v8, v[4:5]
	v_mov_b32_e32 v4, v1
	v_mad_u64_u32 v[10:11], s[2:3], s13, v88, v[4:5]
	ds_read2_b64 v[4:7], v82 offset0:126 offset1:210
	v_mov_b32_e32 v1, v10
	v_lshl_add_u64 v[10:11], v[14:15], 3, v[12:13]
	v_lshl_add_u64 v[0:1], v[0:1], 3, v[10:11]
	global_store_dwordx2 v[0:1], v[8:9], off
	s_waitcnt lgkmcnt(0)
	v_mul_f32_e32 v8, v105, v7
	v_fmac_f32_e32 v8, v104, v6
	v_mul_f32_e32 v6, v105, v6
	v_fma_f32 v6, v104, v7, -v6
	v_cvt_f64_f32_e32 v[8:9], v8
	v_cvt_f64_f32_e32 v[6:7], v6
	v_mul_f64 v[8:9], v[8:9], s[0:1]
	v_mul_f64 v[6:7], v[6:7], s[0:1]
	v_cvt_f32_f64_e32 v10, v[8:9]
	v_cvt_f32_f64_e32 v11, v[6:7]
	ds_read2_b64 v[6:9], v28 offset0:164 offset1:227
	s_mul_i32 s2, s13, 0xd2
	s_mul_hi_u32 s3, s12, 0xd2
	s_add_i32 s3, s3, s2
	s_mul_i32 s2, s12, 0xd2
	s_lshl_b64 s[2:3], s[2:3], 3
	v_lshl_add_u64 v[0:1], v[0:1], 0, s[2:3]
	global_store_dwordx2 v[0:1], v[10:11], off
	s_waitcnt lgkmcnt(0)
	v_mul_f32_e32 v10, v101, v7
	v_fmac_f32_e32 v10, v100, v6
	v_mul_f32_e32 v6, v101, v6
	v_fma_f32 v6, v100, v7, -v6
	v_cvt_f64_f32_e32 v[10:11], v10
	v_cvt_f64_f32_e32 v[6:7], v6
	v_mul_f64 v[10:11], v[10:11], s[0:1]
	v_mul_f64 v[6:7], v[6:7], s[0:1]
	v_cvt_f32_f64_e32 v10, v[10:11]
	v_cvt_f32_f64_e32 v11, v[6:7]
	v_lshl_add_u64 v[6:7], v[0:1], 0, s[2:3]
	v_mul_f32_e32 v0, v103, v3
	v_fmac_f32_e32 v0, v102, v2
	v_cvt_f64_f32_e32 v[0:1], v0
	v_mul_f64 v[0:1], v[0:1], s[0:1]
	global_store_dwordx2 v[6:7], v[10:11], off
	v_cvt_f32_f64_e32 v10, v[0:1]
	v_mul_f32_e32 v0, v103, v2
	v_fma_f32 v0, v102, v3, -v0
	v_cvt_f64_f32_e32 v[0:1], v0
	v_mul_f64 v[0:1], v[0:1], s[0:1]
	v_cvt_f32_f64_e32 v11, v[0:1]
	s_mul_hi_u32 s5, s12, 0xfffffe9b
	ds_read2_b64 v[0:3], v28 offset0:17 offset1:80
	s_mul_i32 s4, s13, 0xfffffe9b
	s_sub_i32 s5, s5, s12
	s_add_i32 s5, s5, s4
	s_mul_i32 s4, s12, 0xfffffe9b
	s_lshl_b64 s[6:7], s[4:5], 3
	v_lshl_add_u64 v[6:7], v[6:7], 0, s[6:7]
	global_store_dwordx2 v[6:7], v[10:11], off
	s_waitcnt lgkmcnt(0)
	v_mul_f32_e32 v10, v97, v1
	v_fmac_f32_e32 v10, v96, v0
	v_mul_f32_e32 v0, v97, v0
	v_fma_f32 v0, v96, v1, -v0
	v_cvt_f64_f32_e32 v[10:11], v10
	v_cvt_f64_f32_e32 v[0:1], v0
	v_mul_f64 v[10:11], v[10:11], s[0:1]
	v_mul_f64 v[0:1], v[0:1], s[0:1]
	v_cvt_f32_f64_e32 v10, v[10:11]
	v_cvt_f32_f64_e32 v11, v[0:1]
	v_lshl_add_u64 v[0:1], v[6:7], 0, s[2:3]
	v_mul_f32_e32 v6, v95, v9
	v_fmac_f32_e32 v6, v94, v8
	v_cvt_f64_f32_e32 v[6:7], v6
	v_mul_f64 v[6:7], v[6:7], s[0:1]
	v_cvt_f32_f64_e32 v6, v[6:7]
	v_mul_f32_e32 v7, v95, v8
	v_fma_f32 v7, v94, v9, -v7
	v_cvt_f64_f32_e32 v[8:9], v7
	v_mul_f64 v[8:9], v[8:9], s[0:1]
	global_store_dwordx2 v[0:1], v[10:11], off
	v_cvt_f32_f64_e32 v7, v[8:9]
	v_lshl_add_u64 v[0:1], v[0:1], 0, s[2:3]
	global_store_dwordx2 v[0:1], v[6:7], off
	v_mul_f32_e32 v6, v93, v5
	v_fmac_f32_e32 v6, v92, v4
	v_mul_f32_e32 v4, v93, v4
	v_fma_f32 v4, v92, v5, -v4
	v_cvt_f64_f32_e32 v[6:7], v6
	v_cvt_f64_f32_e32 v[4:5], v4
	v_mul_f64 v[6:7], v[6:7], s[0:1]
	v_mul_f64 v[4:5], v[4:5], s[0:1]
	v_cvt_f32_f64_e32 v6, v[6:7]
	v_cvt_f32_f64_e32 v7, v[4:5]
	v_lshl_add_u64 v[0:1], v[0:1], 0, s[6:7]
	global_store_dwordx2 v[0:1], v[6:7], off
	v_mul_f32_e32 v4, v91, v3
	ds_read_b64 v[6:7], v82 offset:4368
	v_fmac_f32_e32 v4, v90, v2
	v_mul_f32_e32 v2, v91, v2
	v_fma_f32 v2, v90, v3, -v2
	v_cvt_f64_f32_e32 v[4:5], v4
	v_cvt_f64_f32_e32 v[2:3], v2
	v_mul_f64 v[4:5], v[4:5], s[0:1]
	v_mul_f64 v[2:3], v[2:3], s[0:1]
	v_cvt_f32_f64_e32 v4, v[4:5]
	v_cvt_f32_f64_e32 v5, v[2:3]
	s_waitcnt lgkmcnt(0)
	v_mul_f32_e32 v2, v87, v7
	v_fmac_f32_e32 v2, v86, v6
	v_cvt_f64_f32_e32 v[2:3], v2
	v_mul_f64 v[2:3], v[2:3], s[0:1]
	v_cvt_f32_f64_e32 v2, v[2:3]
	v_mul_f32_e32 v3, v87, v6
	v_lshl_add_u64 v[0:1], v[0:1], 0, s[2:3]
	v_fma_f32 v3, v86, v7, -v3
	global_store_dwordx2 v[0:1], v[4:5], off
	v_cvt_f64_f32_e32 v[4:5], v3
	v_mul_f64 v[4:5], v[4:5], s[0:1]
	v_cvt_f32_f64_e32 v3, v[4:5]
	v_lshl_add_u64 v[0:1], v[0:1], 0, s[2:3]
	global_store_dwordx2 v[0:1], v[2:3], off
	s_and_b64 exec, exec, s[8:9]
	s_cbranch_execz .LBB0_31
; %bb.30:
	s_movk_i32 s6, 0x1000
	global_load_dwordx2 v[6:7], v[84:85], off offset:1512
	global_load_dwordx2 v[8:9], v[84:85], off offset:3192
	v_add_co_u32_e32 v2, vcc, s6, v84
	ds_read_b64 v[12:13], v82 offset:4872
	s_nop 0
	v_addc_co_u32_e32 v3, vcc, 0, v85, vcc
	global_load_dwordx2 v[10:11], v[2:3], off offset:776
	v_add_u32_e32 v2, 0x500, v82
	ds_read2_b64 v[2:5], v2 offset0:29 offset1:239
	v_lshl_add_u64 v[0:1], s[4:5], 3, v[0:1]
	v_lshl_add_u64 v[14:15], v[0:1], 0, s[2:3]
	s_waitcnt vmcnt(2) lgkmcnt(0)
	v_mul_f32_e32 v16, v3, v7
	v_mul_f32_e32 v7, v2, v7
	s_waitcnt vmcnt(1)
	v_mul_f32_e32 v17, v5, v9
	v_mul_f32_e32 v9, v4, v9
	v_fmac_f32_e32 v16, v2, v6
	v_fma_f32 v6, v6, v3, -v7
	v_fmac_f32_e32 v17, v4, v8
	v_fma_f32 v8, v8, v5, -v9
	v_cvt_f64_f32_e32 v[2:3], v16
	v_cvt_f64_f32_e32 v[4:5], v6
	;; [unrolled: 1-line block ×4, first 2 shown]
	s_waitcnt vmcnt(0)
	v_mul_f32_e32 v16, v13, v11
	v_mul_f32_e32 v11, v12, v11
	v_mul_f64 v[2:3], v[2:3], s[0:1]
	v_mul_f64 v[4:5], v[4:5], s[0:1]
	v_mul_f64 v[6:7], v[6:7], s[0:1]
	v_mul_f64 v[8:9], v[8:9], s[0:1]
	v_fmac_f32_e32 v16, v12, v10
	v_fma_f32 v10, v10, v13, -v11
	v_cvt_f32_f64_e32 v2, v[2:3]
	v_cvt_f32_f64_e32 v3, v[4:5]
	;; [unrolled: 1-line block ×4, first 2 shown]
	v_cvt_f64_f32_e32 v[6:7], v16
	v_cvt_f64_f32_e32 v[8:9], v10
	global_store_dwordx2 v[0:1], v[2:3], off
	global_store_dwordx2 v[14:15], v[4:5], off
	v_mul_f64 v[0:1], v[6:7], s[0:1]
	v_mul_f64 v[2:3], v[8:9], s[0:1]
	v_cvt_f32_f64_e32 v0, v[0:1]
	v_cvt_f32_f64_e32 v1, v[2:3]
	v_lshl_add_u64 v[2:3], v[14:15], 0, s[2:3]
	global_store_dwordx2 v[2:3], v[0:1], off
.LBB0_31:
	s_endpgm
	.section	.rodata,"a",@progbits
	.p2align	6, 0x0
	.amdhsa_kernel bluestein_single_back_len630_dim1_sp_op_CI_CI
		.amdhsa_group_segment_fixed_size 5040
		.amdhsa_private_segment_fixed_size 0
		.amdhsa_kernarg_size 104
		.amdhsa_user_sgpr_count 2
		.amdhsa_user_sgpr_dispatch_ptr 0
		.amdhsa_user_sgpr_queue_ptr 0
		.amdhsa_user_sgpr_kernarg_segment_ptr 1
		.amdhsa_user_sgpr_dispatch_id 0
		.amdhsa_user_sgpr_kernarg_preload_length 0
		.amdhsa_user_sgpr_kernarg_preload_offset 0
		.amdhsa_user_sgpr_private_segment_size 0
		.amdhsa_uses_dynamic_stack 0
		.amdhsa_enable_private_segment 0
		.amdhsa_system_sgpr_workgroup_id_x 1
		.amdhsa_system_sgpr_workgroup_id_y 0
		.amdhsa_system_sgpr_workgroup_id_z 0
		.amdhsa_system_sgpr_workgroup_info 0
		.amdhsa_system_vgpr_workitem_id 0
		.amdhsa_next_free_vgpr 164
		.amdhsa_next_free_sgpr 32
		.amdhsa_accum_offset 164
		.amdhsa_reserve_vcc 1
		.amdhsa_float_round_mode_32 0
		.amdhsa_float_round_mode_16_64 0
		.amdhsa_float_denorm_mode_32 3
		.amdhsa_float_denorm_mode_16_64 3
		.amdhsa_dx10_clamp 1
		.amdhsa_ieee_mode 1
		.amdhsa_fp16_overflow 0
		.amdhsa_tg_split 0
		.amdhsa_exception_fp_ieee_invalid_op 0
		.amdhsa_exception_fp_denorm_src 0
		.amdhsa_exception_fp_ieee_div_zero 0
		.amdhsa_exception_fp_ieee_overflow 0
		.amdhsa_exception_fp_ieee_underflow 0
		.amdhsa_exception_fp_ieee_inexact 0
		.amdhsa_exception_int_div_zero 0
	.end_amdhsa_kernel
	.text
.Lfunc_end0:
	.size	bluestein_single_back_len630_dim1_sp_op_CI_CI, .Lfunc_end0-bluestein_single_back_len630_dim1_sp_op_CI_CI
                                        ; -- End function
	.section	.AMDGPU.csdata,"",@progbits
; Kernel info:
; codeLenInByte = 12228
; NumSgprs: 38
; NumVgprs: 164
; NumAgprs: 0
; TotalNumVgprs: 164
; ScratchSize: 0
; MemoryBound: 0
; FloatMode: 240
; IeeeMode: 1
; LDSByteSize: 5040 bytes/workgroup (compile time only)
; SGPRBlocks: 4
; VGPRBlocks: 20
; NumSGPRsForWavesPerEU: 38
; NumVGPRsForWavesPerEU: 164
; AccumOffset: 164
; Occupancy: 3
; WaveLimiterHint : 1
; COMPUTE_PGM_RSRC2:SCRATCH_EN: 0
; COMPUTE_PGM_RSRC2:USER_SGPR: 2
; COMPUTE_PGM_RSRC2:TRAP_HANDLER: 0
; COMPUTE_PGM_RSRC2:TGID_X_EN: 1
; COMPUTE_PGM_RSRC2:TGID_Y_EN: 0
; COMPUTE_PGM_RSRC2:TGID_Z_EN: 0
; COMPUTE_PGM_RSRC2:TIDIG_COMP_CNT: 0
; COMPUTE_PGM_RSRC3_GFX90A:ACCUM_OFFSET: 40
; COMPUTE_PGM_RSRC3_GFX90A:TG_SPLIT: 0
	.text
	.p2alignl 6, 3212836864
	.fill 256, 4, 3212836864
	.type	__hip_cuid_e7f1b201b4ab9794,@object ; @__hip_cuid_e7f1b201b4ab9794
	.section	.bss,"aw",@nobits
	.globl	__hip_cuid_e7f1b201b4ab9794
__hip_cuid_e7f1b201b4ab9794:
	.byte	0                               ; 0x0
	.size	__hip_cuid_e7f1b201b4ab9794, 1

	.ident	"AMD clang version 19.0.0git (https://github.com/RadeonOpenCompute/llvm-project roc-6.4.0 25133 c7fe45cf4b819c5991fe208aaa96edf142730f1d)"
	.section	".note.GNU-stack","",@progbits
	.addrsig
	.addrsig_sym __hip_cuid_e7f1b201b4ab9794
	.amdgpu_metadata
---
amdhsa.kernels:
  - .agpr_count:     0
    .args:
      - .actual_access:  read_only
        .address_space:  global
        .offset:         0
        .size:           8
        .value_kind:     global_buffer
      - .actual_access:  read_only
        .address_space:  global
        .offset:         8
        .size:           8
        .value_kind:     global_buffer
      - .actual_access:  read_only
        .address_space:  global
        .offset:         16
        .size:           8
        .value_kind:     global_buffer
      - .actual_access:  read_only
        .address_space:  global
        .offset:         24
        .size:           8
        .value_kind:     global_buffer
      - .actual_access:  read_only
        .address_space:  global
        .offset:         32
        .size:           8
        .value_kind:     global_buffer
      - .offset:         40
        .size:           8
        .value_kind:     by_value
      - .address_space:  global
        .offset:         48
        .size:           8
        .value_kind:     global_buffer
      - .address_space:  global
        .offset:         56
        .size:           8
        .value_kind:     global_buffer
      - .address_space:  global
        .offset:         64
        .size:           8
        .value_kind:     global_buffer
      - .address_space:  global
        .offset:         72
        .size:           8
        .value_kind:     global_buffer
      - .offset:         80
        .size:           4
        .value_kind:     by_value
      - .address_space:  global
        .offset:         88
        .size:           8
        .value_kind:     global_buffer
      - .address_space:  global
        .offset:         96
        .size:           8
        .value_kind:     global_buffer
    .group_segment_fixed_size: 5040
    .kernarg_segment_align: 8
    .kernarg_segment_size: 104
    .language:       OpenCL C
    .language_version:
      - 2
      - 0
    .max_flat_workgroup_size: 63
    .name:           bluestein_single_back_len630_dim1_sp_op_CI_CI
    .private_segment_fixed_size: 0
    .sgpr_count:     38
    .sgpr_spill_count: 0
    .symbol:         bluestein_single_back_len630_dim1_sp_op_CI_CI.kd
    .uniform_work_group_size: 1
    .uses_dynamic_stack: false
    .vgpr_count:     164
    .vgpr_spill_count: 0
    .wavefront_size: 64
amdhsa.target:   amdgcn-amd-amdhsa--gfx950
amdhsa.version:
  - 1
  - 2
...

	.end_amdgpu_metadata
